;; amdgpu-corpus repo=FlagOpen/FlagGems kind=triton arch=gfx90a opt=O3 lang=triton
	.amdgcn_target "amdgcn-amd-amdhsa--gfx90a"
	.amdhsa_code_object_version 5
	.text
	.globl	_attn_fwd                       ; -- Begin function _attn_fwd
	.p2align	8
	.type	_attn_fwd,@function
_attn_fwd:                              ; @_attn_fwd
.Lfunc_begin0:
	.cfi_sections .debug_frame
	.cfi_startproc
; %bb.143:
	.file	1 "/root/src/amdgpu-assembly/repos/FlagOpen__FlagGems/triton_aot_kernels" "attention_aot.py"
	.loc	1 117 0 prologue_end            ; attention_aot.py:117:0
	s_load_dwordx2 s[6:7], s[4:5], 0x0
	s_load_dwordx4 s[8:11], s[4:5], 0x8
	s_load_dwordx2 s[12:13], s[4:5], 0x18
	s_load_dword s14, s[4:5], 0x20
	s_waitcnt lgkmcnt(0)
	s_branch .LBB0_0
	.loc	1 0 0 is_stmt 0                 ; :0:0
.Ltmp0:
	.p2align	8
; %bb.144:
.LBB0_0:
	s_load_dword s12, s[4:5], 0x8c
.Ltmp1:
	.loc	1 161 25 is_stmt 1              ; attention_aot.py:161:25
	s_abs_i32 s17, s16
	s_load_dword s60, s[4:5], 0x94
	s_load_dwordx4 s[0:3], s[4:5], 0x38
	.loc	1 175 33                        ; attention_aot.py:175:33
	v_and_b32_e32 v130, 63, v0
	v_lshrrev_b32_e32 v122, 6, v0
	.loc	1 161 25                        ; attention_aot.py:161:25
	s_waitcnt lgkmcnt(0)
	s_abs_i32 s13, s12
	v_cvt_f32_u32_e32 v1, s13
	s_sub_i32 s19, 0, s13
	s_xor_b32 s18, s16, s12
	s_ashr_i32 s18, s18, 31
	v_rcp_iflag_f32_e32 v1, v1
	.loc	1 186 35                        ; attention_aot.py:186:35
	v_mul_lo_u32 v2, s3, v130
	.loc	1 186 10 is_stmt 0              ; attention_aot.py:186:10
	v_ashrrev_i32_e32 v3, 31, v2
	v_mov_b32_e32 v4, 0
	.loc	1 161 25 is_stmt 1              ; attention_aot.py:161:25
	v_mul_f32_e32 v1, 0x4f7ffffe, v1
	v_cvt_u32_f32_e32 v1, v1
	v_readfirstlane_b32 s20, v1
	s_mul_i32 s19, s19, s20
	s_mul_hi_u32 s19, s20, s19
	s_add_i32 s20, s20, s19
	s_mul_hi_u32 s19, s17, s20
	s_mul_i32 s20, s19, s13
	s_sub_i32 s17, s17, s20
	s_add_i32 s20, s19, 1
	s_sub_i32 s21, s17, s13
	s_cmp_ge_u32 s17, s13
	s_cselect_b32 s19, s20, s19
	s_cselect_b32 s17, s21, s17
	s_add_i32 s20, s19, 1
	s_cmp_ge_u32 s17, s13
	s_cselect_b32 s13, s20, s19
	s_xor_b32 s13, s13, s18
	s_sub_i32 s33, s13, s18
	.loc	1 162 23                        ; attention_aot.py:162:23
	s_mul_i32 s12, s33, s12
	s_sub_i32 s17, s16, s12
	.loc	1 166 32                        ; attention_aot.py:166:32
	s_mul_hi_i32 s13, s33, s0
	s_mul_i32 s12, s33, s0
	.loc	1 166 72 is_stmt 0              ; attention_aot.py:166:72
	s_mul_hi_i32 s19, s17, s1
	s_mul_i32 s18, s17, s1
	.loc	1 178 23 is_stmt 1              ; attention_aot.py:178:23
	s_lshl_b32 s15, s15, 7
	.loc	1 184 10                        ; attention_aot.py:184:10
	s_lshl_b64 s[0:1], s[12:13], 1
	s_add_u32 s6, s6, s0
	s_addc_u32 s7, s7, s1
	s_lshl_b64 s[0:1], s[18:19], 1
	.loc	1 178 33                        ; attention_aot.py:178:33
	v_or_b32_e32 v135, s15, v122
	.loc	1 184 10                        ; attention_aot.py:184:10
	s_add_u32 s6, s6, s0
	.loc	1 179 27                        ; attention_aot.py:179:27
	v_cmp_gt_i32_e32 vcc, s60, v135
	.loc	1 184 10                        ; attention_aot.py:184:10
	s_addc_u32 s7, s7, s1
	v_mov_b32_e32 v1, 0
	.loc	1 230 20                        ; attention_aot.py:230:20
	s_and_saveexec_b64 s[0:1], vcc
	s_cbranch_execz .LBB0_2
; %bb.1:
	.loc	1 0 20 is_stmt 0                ; attention_aot.py:0:20
	v_mul_lo_u32 v4, s2, v135
	v_ashrrev_i32_e32 v5, 31, v4
	v_lshlrev_b64 v[4:5], 1, v[4:5]
	v_mov_b32_e32 v6, s7
	v_add_co_u32_e32 v7, vcc, s6, v4
	v_addc_co_u32_e32 v6, vcc, v6, v5, vcc
	v_lshlrev_b64 v[4:5], 1, v[2:3]
	v_add_co_u32_e32 v4, vcc, v7, v4
	v_addc_co_u32_e32 v5, vcc, v6, v5, vcc
	.loc	1 230 20                        ; attention_aot.py:230:20
	global_load_ushort v4, v[4:5], off
.LBB0_2:
	.loc	1 0 20                          ; attention_aot.py:0:20
	s_or_b64 exec, exec, s[0:1]
	.loc	1 175 33 is_stmt 1              ; attention_aot.py:175:33
	v_or_b32_e32 v123, 8, v122
	.loc	1 178 33                        ; attention_aot.py:178:33
	v_or_b32_e32 v136, s15, v123
	.loc	1 179 27                        ; attention_aot.py:179:27
	v_cmp_gt_i32_e32 vcc, s60, v136
	.loc	1 230 20                        ; attention_aot.py:230:20
	s_and_saveexec_b64 s[0:1], vcc
	s_cbranch_execz .LBB0_4
; %bb.3:
	.loc	1 185 28                        ; attention_aot.py:185:28
	v_mul_lo_u32 v6, s2, v136
	.loc	1 185 10 is_stmt 0              ; attention_aot.py:185:10
	v_ashrrev_i32_e32 v7, 31, v6
	v_lshlrev_b64 v[6:7], 1, v[6:7]
	v_mov_b32_e32 v1, s7
	v_add_co_u32_e32 v5, vcc, s6, v6
	v_addc_co_u32_e32 v1, vcc, v1, v7, vcc
	.loc	1 186 10 is_stmt 1              ; attention_aot.py:186:10
	v_lshlrev_b64 v[6:7], 1, v[2:3]
	v_add_co_u32_e32 v6, vcc, v5, v6
	v_addc_co_u32_e32 v7, vcc, v1, v7, vcc
	.loc	1 230 20                        ; attention_aot.py:230:20
	global_load_ushort v1, v[6:7], off
.LBB0_4:
	.loc	1 0 20 is_stmt 0                ; attention_aot.py:0:20
	s_or_b64 exec, exec, s[0:1]
	.loc	1 175 33 is_stmt 1              ; attention_aot.py:175:33
	v_or_b32_e32 v124, 16, v122
	.loc	1 178 33                        ; attention_aot.py:178:33
	v_or_b32_e32 v137, s15, v124
	.loc	1 179 27                        ; attention_aot.py:179:27
	v_cmp_gt_i32_e32 vcc, s60, v137
	v_mov_b32_e32 v5, 0
	v_mov_b32_e32 v6, 0
	.loc	1 230 20                        ; attention_aot.py:230:20
	s_and_saveexec_b64 s[0:1], vcc
	s_cbranch_execz .LBB0_6
; %bb.5:
	.loc	1 185 28                        ; attention_aot.py:185:28
	v_mul_lo_u32 v6, s2, v137
	.loc	1 185 10 is_stmt 0              ; attention_aot.py:185:10
	v_ashrrev_i32_e32 v7, 31, v6
	v_lshlrev_b64 v[6:7], 1, v[6:7]
	v_mov_b32_e32 v8, s7
	v_add_co_u32_e32 v9, vcc, s6, v6
	v_addc_co_u32_e32 v8, vcc, v8, v7, vcc
	.loc	1 186 10 is_stmt 1              ; attention_aot.py:186:10
	v_lshlrev_b64 v[6:7], 1, v[2:3]
	v_add_co_u32_e32 v6, vcc, v9, v6
	v_addc_co_u32_e32 v7, vcc, v8, v7, vcc
	.loc	1 230 20                        ; attention_aot.py:230:20
	global_load_ushort v6, v[6:7], off
.LBB0_6:
	.loc	1 0 20 is_stmt 0                ; attention_aot.py:0:20
	s_or_b64 exec, exec, s[0:1]
	.loc	1 175 33 is_stmt 1              ; attention_aot.py:175:33
	v_or_b32_e32 v125, 24, v122
	.loc	1 178 33                        ; attention_aot.py:178:33
	v_or_b32_e32 v138, s15, v125
	.loc	1 179 27                        ; attention_aot.py:179:27
	v_cmp_gt_i32_e32 vcc, s60, v138
	.loc	1 230 20                        ; attention_aot.py:230:20
	s_and_saveexec_b64 s[0:1], vcc
	s_cbranch_execz .LBB0_8
; %bb.7:
	.loc	1 185 28                        ; attention_aot.py:185:28
	v_mul_lo_u32 v8, s2, v138
	.loc	1 185 10 is_stmt 0              ; attention_aot.py:185:10
	v_ashrrev_i32_e32 v9, 31, v8
	v_lshlrev_b64 v[8:9], 1, v[8:9]
	v_mov_b32_e32 v5, s7
	v_add_co_u32_e32 v7, vcc, s6, v8
	v_addc_co_u32_e32 v5, vcc, v5, v9, vcc
	.loc	1 186 10 is_stmt 1              ; attention_aot.py:186:10
	v_lshlrev_b64 v[8:9], 1, v[2:3]
	v_add_co_u32_e32 v8, vcc, v7, v8
	v_addc_co_u32_e32 v9, vcc, v5, v9, vcc
	.loc	1 230 20                        ; attention_aot.py:230:20
	global_load_ushort v5, v[8:9], off
.LBB0_8:
	.loc	1 0 20 is_stmt 0                ; attention_aot.py:0:20
	s_or_b64 exec, exec, s[0:1]
	.loc	1 175 33 is_stmt 1              ; attention_aot.py:175:33
	v_or_b32_e32 v126, 32, v122
	.loc	1 178 33                        ; attention_aot.py:178:33
	v_or_b32_e32 v139, s15, v126
	.loc	1 179 27                        ; attention_aot.py:179:27
	v_cmp_gt_i32_e32 vcc, s60, v139
	v_mov_b32_e32 v7, 0
	v_mov_b32_e32 v8, 0
	.loc	1 230 20                        ; attention_aot.py:230:20
	s_and_saveexec_b64 s[0:1], vcc
	s_cbranch_execz .LBB0_10
; %bb.9:
	.loc	1 185 28                        ; attention_aot.py:185:28
	v_mul_lo_u32 v8, s2, v139
	.loc	1 185 10 is_stmt 0              ; attention_aot.py:185:10
	v_ashrrev_i32_e32 v9, 31, v8
	v_lshlrev_b64 v[8:9], 1, v[8:9]
	v_mov_b32_e32 v10, s7
	v_add_co_u32_e32 v11, vcc, s6, v8
	v_addc_co_u32_e32 v10, vcc, v10, v9, vcc
	.loc	1 186 10 is_stmt 1              ; attention_aot.py:186:10
	v_lshlrev_b64 v[8:9], 1, v[2:3]
	v_add_co_u32_e32 v8, vcc, v11, v8
	v_addc_co_u32_e32 v9, vcc, v10, v9, vcc
	.loc	1 230 20                        ; attention_aot.py:230:20
	global_load_ushort v8, v[8:9], off
.LBB0_10:
	.loc	1 0 20 is_stmt 0                ; attention_aot.py:0:20
	;; [unrolled: 56-line block ×3, first 2 shown]
	s_or_b64 exec, exec, s[0:1]
	.loc	1 175 33 is_stmt 1              ; attention_aot.py:175:33
	v_or_b32_e32 v129, 56, v122
	.loc	1 178 33                        ; attention_aot.py:178:33
	v_or_b32_e32 v142, s15, v129
	.loc	1 179 27                        ; attention_aot.py:179:27
	v_cmp_gt_i32_e32 vcc, s60, v142
	.loc	1 230 20                        ; attention_aot.py:230:20
	s_and_saveexec_b64 s[0:1], vcc
	s_cbranch_execz .LBB0_16
; %bb.15:
	.loc	1 185 28                        ; attention_aot.py:185:28
	v_mul_lo_u32 v12, s2, v142
	.loc	1 185 10 is_stmt 0              ; attention_aot.py:185:10
	v_ashrrev_i32_e32 v13, 31, v12
	v_lshlrev_b64 v[12:13], 1, v[12:13]
	v_mov_b32_e32 v9, s7
	v_add_co_u32_e32 v11, vcc, s6, v12
	v_addc_co_u32_e32 v9, vcc, v9, v13, vcc
	.loc	1 186 10 is_stmt 1              ; attention_aot.py:186:10
	v_lshlrev_b64 v[12:13], 1, v[2:3]
	v_add_co_u32_e32 v12, vcc, v11, v12
	v_addc_co_u32_e32 v13, vcc, v9, v13, vcc
	.loc	1 230 20                        ; attention_aot.py:230:20
	global_load_ushort v9, v[12:13], off
.LBB0_16:
	.loc	1 0 20 is_stmt 0                ; attention_aot.py:0:20
	s_or_b64 exec, exec, s[0:1]
	.loc	1 178 33 is_stmt 1              ; attention_aot.py:178:33
	v_or_b32_e32 v13, 64, v135
	.loc	1 179 27                        ; attention_aot.py:179:27
	v_cmp_gt_i32_e32 vcc, s60, v13
	v_mov_b32_e32 v11, 0
	v_mov_b32_e32 v12, 0
	.loc	1 230 20                        ; attention_aot.py:230:20
	s_and_saveexec_b64 s[0:1], vcc
	s_cbranch_execz .LBB0_18
; %bb.17:
	.loc	1 185 28                        ; attention_aot.py:185:28
	v_mul_lo_u32 v12, s2, v13
	.loc	1 185 10 is_stmt 0              ; attention_aot.py:185:10
	v_ashrrev_i32_e32 v13, 31, v12
	v_lshlrev_b64 v[12:13], 1, v[12:13]
	v_mov_b32_e32 v14, s7
	v_add_co_u32_e32 v15, vcc, s6, v12
	v_addc_co_u32_e32 v14, vcc, v14, v13, vcc
	.loc	1 186 10 is_stmt 1              ; attention_aot.py:186:10
	v_lshlrev_b64 v[12:13], 1, v[2:3]
	v_add_co_u32_e32 v12, vcc, v15, v12
	v_addc_co_u32_e32 v13, vcc, v14, v13, vcc
	.loc	1 230 20                        ; attention_aot.py:230:20
	global_load_ushort v12, v[12:13], off
.LBB0_18:
	.loc	1 0 20 is_stmt 0                ; attention_aot.py:0:20
	s_or_b64 exec, exec, s[0:1]
	.loc	1 178 33 is_stmt 1              ; attention_aot.py:178:33
	v_or_b32_e32 v13, 0x48, v135
	.loc	1 179 27                        ; attention_aot.py:179:27
	v_cmp_gt_i32_e32 vcc, s60, v13
	.loc	1 230 20                        ; attention_aot.py:230:20
	s_and_saveexec_b64 s[0:1], vcc
	s_cbranch_execz .LBB0_20
; %bb.19:
	.loc	1 185 28                        ; attention_aot.py:185:28
	v_mul_lo_u32 v14, s2, v13
	.loc	1 185 10 is_stmt 0              ; attention_aot.py:185:10
	v_ashrrev_i32_e32 v15, 31, v14
	v_lshlrev_b64 v[14:15], 1, v[14:15]
	v_mov_b32_e32 v11, s7
	v_add_co_u32_e32 v13, vcc, s6, v14
	v_addc_co_u32_e32 v11, vcc, v11, v15, vcc
	.loc	1 186 10 is_stmt 1              ; attention_aot.py:186:10
	v_lshlrev_b64 v[14:15], 1, v[2:3]
	v_add_co_u32_e32 v14, vcc, v13, v14
	v_addc_co_u32_e32 v15, vcc, v11, v15, vcc
	.loc	1 230 20                        ; attention_aot.py:230:20
	global_load_ushort v11, v[14:15], off
.LBB0_20:
	.loc	1 0 20 is_stmt 0                ; attention_aot.py:0:20
	s_or_b64 exec, exec, s[0:1]
	.loc	1 178 33 is_stmt 1              ; attention_aot.py:178:33
	v_or_b32_e32 v15, 0x50, v135
	.loc	1 179 27                        ; attention_aot.py:179:27
	v_cmp_gt_i32_e32 vcc, s60, v15
	v_mov_b32_e32 v13, 0
	v_mov_b32_e32 v14, 0
	.loc	1 230 20                        ; attention_aot.py:230:20
	s_and_saveexec_b64 s[0:1], vcc
	s_cbranch_execz .LBB0_22
; %bb.21:
	.loc	1 185 28                        ; attention_aot.py:185:28
	v_mul_lo_u32 v14, s2, v15
	.loc	1 185 10 is_stmt 0              ; attention_aot.py:185:10
	v_ashrrev_i32_e32 v15, 31, v14
	v_lshlrev_b64 v[14:15], 1, v[14:15]
	v_mov_b32_e32 v16, s7
	v_add_co_u32_e32 v17, vcc, s6, v14
	v_addc_co_u32_e32 v16, vcc, v16, v15, vcc
	.loc	1 186 10 is_stmt 1              ; attention_aot.py:186:10
	v_lshlrev_b64 v[14:15], 1, v[2:3]
	v_add_co_u32_e32 v14, vcc, v17, v14
	v_addc_co_u32_e32 v15, vcc, v16, v15, vcc
	.loc	1 230 20                        ; attention_aot.py:230:20
	global_load_ushort v14, v[14:15], off
.LBB0_22:
	.loc	1 0 20 is_stmt 0                ; attention_aot.py:0:20
	s_or_b64 exec, exec, s[0:1]
	.loc	1 178 33 is_stmt 1              ; attention_aot.py:178:33
	v_or_b32_e32 v15, 0x58, v135
	.loc	1 179 27                        ; attention_aot.py:179:27
	v_cmp_gt_i32_e32 vcc, s60, v15
	.loc	1 230 20                        ; attention_aot.py:230:20
	s_and_saveexec_b64 s[0:1], vcc
	s_cbranch_execz .LBB0_24
; %bb.23:
	.loc	1 185 28                        ; attention_aot.py:185:28
	v_mul_lo_u32 v16, s2, v15
	.loc	1 185 10 is_stmt 0              ; attention_aot.py:185:10
	v_ashrrev_i32_e32 v17, 31, v16
	v_lshlrev_b64 v[16:17], 1, v[16:17]
	v_mov_b32_e32 v13, s7
	v_add_co_u32_e32 v15, vcc, s6, v16
	v_addc_co_u32_e32 v13, vcc, v13, v17, vcc
	.loc	1 186 10 is_stmt 1              ; attention_aot.py:186:10
	v_lshlrev_b64 v[16:17], 1, v[2:3]
	v_add_co_u32_e32 v16, vcc, v15, v16
	v_addc_co_u32_e32 v17, vcc, v13, v17, vcc
	.loc	1 230 20                        ; attention_aot.py:230:20
	global_load_ushort v13, v[16:17], off
.LBB0_24:
	.loc	1 0 20 is_stmt 0                ; attention_aot.py:0:20
	s_or_b64 exec, exec, s[0:1]
	.loc	1 178 33 is_stmt 1              ; attention_aot.py:178:33
	v_or_b32_e32 v17, 0x60, v135
	.loc	1 179 27                        ; attention_aot.py:179:27
	v_cmp_gt_i32_e32 vcc, s60, v17
	v_mov_b32_e32 v15, 0
	v_mov_b32_e32 v16, 0
	.loc	1 230 20                        ; attention_aot.py:230:20
	s_and_saveexec_b64 s[0:1], vcc
	s_cbranch_execz .LBB0_26
; %bb.25:
	.loc	1 185 28                        ; attention_aot.py:185:28
	v_mul_lo_u32 v16, s2, v17
	.loc	1 185 10 is_stmt 0              ; attention_aot.py:185:10
	v_ashrrev_i32_e32 v17, 31, v16
	v_lshlrev_b64 v[16:17], 1, v[16:17]
	v_mov_b32_e32 v18, s7
	v_add_co_u32_e32 v19, vcc, s6, v16
	v_addc_co_u32_e32 v18, vcc, v18, v17, vcc
	.loc	1 186 10 is_stmt 1              ; attention_aot.py:186:10
	v_lshlrev_b64 v[16:17], 1, v[2:3]
	v_add_co_u32_e32 v16, vcc, v19, v16
	v_addc_co_u32_e32 v17, vcc, v18, v17, vcc
	.loc	1 230 20                        ; attention_aot.py:230:20
	global_load_ushort v16, v[16:17], off
.LBB0_26:
	.loc	1 0 20 is_stmt 0                ; attention_aot.py:0:20
	s_or_b64 exec, exec, s[0:1]
	.loc	1 178 33 is_stmt 1              ; attention_aot.py:178:33
	v_or_b32_e32 v17, 0x68, v135
	.loc	1 179 27                        ; attention_aot.py:179:27
	v_cmp_gt_i32_e32 vcc, s60, v17
	.loc	1 230 20                        ; attention_aot.py:230:20
	s_and_saveexec_b64 s[0:1], vcc
	s_cbranch_execz .LBB0_28
; %bb.27:
	.loc	1 185 28                        ; attention_aot.py:185:28
	v_mul_lo_u32 v18, s2, v17
	.loc	1 185 10 is_stmt 0              ; attention_aot.py:185:10
	v_ashrrev_i32_e32 v19, 31, v18
	v_lshlrev_b64 v[18:19], 1, v[18:19]
	v_mov_b32_e32 v15, s7
	v_add_co_u32_e32 v17, vcc, s6, v18
	v_addc_co_u32_e32 v15, vcc, v15, v19, vcc
	.loc	1 186 10 is_stmt 1              ; attention_aot.py:186:10
	v_lshlrev_b64 v[18:19], 1, v[2:3]
	v_add_co_u32_e32 v18, vcc, v17, v18
	v_addc_co_u32_e32 v19, vcc, v15, v19, vcc
	.loc	1 230 20                        ; attention_aot.py:230:20
	global_load_ushort v15, v[18:19], off
.LBB0_28:
	.loc	1 0 20 is_stmt 0                ; attention_aot.py:0:20
	s_or_b64 exec, exec, s[0:1]
	.loc	1 178 33 is_stmt 1              ; attention_aot.py:178:33
	v_or_b32_e32 v19, 0x70, v135
	.loc	1 179 27                        ; attention_aot.py:179:27
	v_cmp_gt_i32_e32 vcc, s60, v19
	v_mov_b32_e32 v17, 0
	v_mov_b32_e32 v18, 0
	.loc	1 230 20                        ; attention_aot.py:230:20
	s_and_saveexec_b64 s[0:1], vcc
	s_cbranch_execz .LBB0_30
; %bb.29:
	.loc	1 185 28                        ; attention_aot.py:185:28
	v_mul_lo_u32 v18, s2, v19
	.loc	1 185 10 is_stmt 0              ; attention_aot.py:185:10
	v_ashrrev_i32_e32 v19, 31, v18
	v_lshlrev_b64 v[18:19], 1, v[18:19]
	v_mov_b32_e32 v20, s7
	v_add_co_u32_e32 v21, vcc, s6, v18
	v_addc_co_u32_e32 v20, vcc, v20, v19, vcc
	.loc	1 186 10 is_stmt 1              ; attention_aot.py:186:10
	v_lshlrev_b64 v[18:19], 1, v[2:3]
	v_add_co_u32_e32 v18, vcc, v21, v18
	v_addc_co_u32_e32 v19, vcc, v20, v19, vcc
	.loc	1 230 20                        ; attention_aot.py:230:20
	global_load_ushort v18, v[18:19], off
.LBB0_30:
	.loc	1 0 20 is_stmt 0                ; attention_aot.py:0:20
	s_or_b64 exec, exec, s[0:1]
	s_load_dwordx4 s[44:47], s[4:5], 0x48
	s_load_dwordx2 s[50:51], s[4:5], 0x60
	.loc	1 178 33 is_stmt 1              ; attention_aot.py:178:33
	v_or_b32_e32 v20, 0x78, v135
	v_and_b32_e32 v19, 0x1c0, v0
	.loc	1 179 27                        ; attention_aot.py:179:27
	v_cmp_gt_i32_e32 vcc, s60, v20
	.loc	1 230 20                        ; attention_aot.py:230:20
	s_and_saveexec_b64 s[0:1], vcc
	s_cbranch_execz .LBB0_32
; %bb.31:
	.loc	1 185 28                        ; attention_aot.py:185:28
	v_mul_lo_u32 v20, s2, v20
	.loc	1 185 10 is_stmt 0              ; attention_aot.py:185:10
	v_ashrrev_i32_e32 v21, 31, v20
	v_lshlrev_b64 v[20:21], 1, v[20:21]
	v_mov_b32_e32 v17, s7
	v_add_co_u32_e32 v20, vcc, s6, v20
	v_addc_co_u32_e32 v17, vcc, v17, v21, vcc
	.loc	1 186 10 is_stmt 1              ; attention_aot.py:186:10
	v_lshlrev_b64 v[2:3], 1, v[2:3]
	v_add_co_u32_e32 v2, vcc, v20, v2
	v_addc_co_u32_e32 v3, vcc, v17, v3, vcc
	.loc	1 230 20                        ; attention_aot.py:230:20
	global_load_ushort v17, v[2:3], off
.LBB0_32:
	.loc	1 0 20 is_stmt 0                ; attention_aot.py:0:20
	s_or_b64 exec, exec, s[0:1]
	.loc	1 230 20                        ; attention_aot.py:230:20
	v_lshlrev_b32_e32 v143, 1, v0
	v_lshrrev_b32_e32 v19, 3, v19
	v_xor_b32_e32 v19, v143, v19
	v_add_u32_e32 v37, 0, v19
	s_waitcnt vmcnt(0)
	ds_write_b16 v37, v4
	ds_write_b16 v37, v6 offset:2048
	v_xad_u32 v4, v19, 64, 0
	.loc	1 175 33 is_stmt 1              ; attention_aot.py:175:33
	v_and_b32_e32 v36, 32, v0
	.loc	1 230 20                        ; attention_aot.py:230:20
	ds_write_b16 v37, v12 offset:8192
	ds_write_b16 v37, v14 offset:10240
	;; [unrolled: 1-line block ×12, first 2 shown]
	v_lshlrev_b32_e32 v5, 3, v0
	.loc	1 178 46                        ; attention_aot.py:178:46
	v_and_b32_e32 v119, 31, v0
	v_and_b32_e32 v131, 0xc0, v0
	.loc	1 230 20                        ; attention_aot.py:230:20
	v_and_b32_e32 v5, 0x78, v5
	v_lshrrev_b32_e32 v6, 2, v36
	v_lshlrev_b32_e32 v1, 7, v119
	v_lshlrev_b32_e32 v4, 6, v131
	v_xor_b32_e32 v5, v5, v6
	v_or3_b32 v1, v1, v4, v5
	.loc	1 163 28                        ; attention_aot.py:163:28
	s_ashr_i32 s0, s17, 31
	.loc	1 230 20                        ; attention_aot.py:230:20
	v_add_u32_e32 v4, 0, v1
	v_xad_u32 v5, v1, 16, 0
	v_xad_u32 v6, v1, 32, 0
	.loc	1 163 28                        ; attention_aot.py:163:28
	s_lshr_b32 s0, s0, 30
	.loc	1 230 20                        ; attention_aot.py:230:20
	ds_write_b16 v37, v8 offset:4096
	ds_write_b16 v37, v10 offset:6144
	s_waitcnt lgkmcnt(0)
	s_barrier
	v_xad_u32 v7, v1, 48, 0
	ds_read_b64 v[184:185], v4
	ds_read_b64 v[176:177], v5
	;; [unrolled: 1-line block ×4, first 2 shown]
	v_xad_u32 v4, v1, 64, 0
	v_xor_b32_e32 v5, 0x50, v1
	v_xor_b32_e32 v6, 0x60, v1
	v_xor_b32_e32 v1, 0x70, v1
	.loc	1 163 28                        ; attention_aot.py:163:28
	s_add_i32 s0, s17, s0
	.loc	1 230 20                        ; attention_aot.py:230:20
	v_add_u32_e32 v5, 0, v5
	v_add_u32_e32 v6, 0, v6
	;; [unrolled: 1-line block ×3, first 2 shown]
	ds_read_b64 v[182:183], v4
	ds_read_b64 v[180:181], v5
	;; [unrolled: 1-line block ×4, first 2 shown]
	.loc	1 163 28                        ; attention_aot.py:163:28
	s_ashr_i32 s0, s0, 2
	s_load_dwordx4 s[40:43], s[4:5], 0x28
	s_load_dword s61, s[4:5], 0x98
	.loc	1 172 32                        ; attention_aot.py:172:32
	s_mul_i32 s2, s33, s44
	.loc	1 172 75 is_stmt 0              ; attention_aot.py:172:75
	s_mul_hi_i32 s3, s0, s45
	s_mul_i32 s0, s0, s45
	.loc	1 172 32                        ; attention_aot.py:172:32
	s_mul_hi_i32 s1, s33, s44
	.loc	1 172 49                        ; attention_aot.py:172:49
	s_add_u32 s52, s0, s2
	.loc	1 192 35 is_stmt 1              ; attention_aot.py:192:35
	v_mul_lo_u32 v20, s47, v122
	.loc	1 197 28                        ; attention_aot.py:197:28
	v_mul_lo_u32 v50, s50, v122
	.loc	1 172 49                        ; attention_aot.py:172:49
	s_addc_u32 s53, s3, s1
	.loc	1 191 28                        ; attention_aot.py:191:28
	v_mul_lo_u32 v2, s46, v130
	.loc	1 192 35                        ; attention_aot.py:192:35
	v_lshl_add_u32 v22, s47, 3, v20
	v_lshl_add_u32 v24, s47, 4, v20
	v_mad_u64_u32 v[26:27], s[0:1], s47, 24, v[20:21]
	v_lshl_add_u32 v28, s47, 5, v20
	v_mad_u64_u32 v[30:31], s[0:1], s47, 40, v[20:21]
	v_mad_u64_u32 v[32:33], s[0:1], s47, 48, v[20:21]
	;; [unrolled: 1-line block ×3, first 2 shown]
	.loc	1 197 28                        ; attention_aot.py:197:28
	v_lshl_add_u32 v48, s50, 3, v50
	v_lshl_add_u32 v46, s50, 4, v50
	v_mad_u64_u32 v[44:45], s[0:1], s50, 24, v[50:51]
	v_lshl_add_u32 v42, s50, 5, v50
	v_mad_u64_u32 v[40:41], s[0:1], s50, 40, v[50:51]
	v_mad_u64_u32 v[38:39], s[0:1], s50, 48, v[50:51]
	;; [unrolled: 1-line block ×3, first 2 shown]
	.loc	1 198 35                        ; attention_aot.py:198:35
	v_mul_lo_u32 v54, s51, v130
	.loc	1 178 46                        ; attention_aot.py:178:46
	v_and_b32_e32 v120, 0x180, v0
	.loc	1 191 10                        ; attention_aot.py:191:10
	v_ashrrev_i32_e32 v3, 31, v2
	.loc	1 192 10                        ; attention_aot.py:192:10
	v_ashrrev_i32_e32 v21, 31, v20
	v_ashrrev_i32_e32 v23, 31, v22
	;; [unrolled: 1-line block ×8, first 2 shown]
	.loc	1 197 10                        ; attention_aot.py:197:10
	v_ashrrev_i32_e32 v51, 31, v50
	v_ashrrev_i32_e32 v49, 31, v48
	;; [unrolled: 1-line block ×8, first 2 shown]
	.loc	1 198 10                        ; attention_aot.py:198:10
	v_ashrrev_i32_e32 v55, 31, v54
.Ltmp2:
	.loc	1 108 33                        ; attention_aot.py:108:33 @[ attention_aot.py:258:12 ]
	s_lshl_b32 s48, s46, 6
	.loc	1 109 33                        ; attention_aot.py:109:33 @[ attention_aot.py:258:12 ]
	s_lshl_b32 s44, s50, 6
.Ltmp3:
	.loc	1 175 33                        ; attention_aot.py:175:33
	v_lshrrev_b32_e32 v101, 3, v36
	.loc	1 186 24                        ; attention_aot.py:186:24
	v_and_b32_e32 v118, 64, v0
	.loc	1 230 20                        ; attention_aot.py:230:20
	s_mov_b32 s47, 0
.Ltmp4:
	.loc	1 50 33                         ; attention_aot.py:50:33 @[ attention_aot.py:258:12 ]
	s_cmp_lt_i32 s15, 1
	v_mov_b32_e32 v102, 0xff800000
	v_mov_b32_e32 v103, 1.0
	v_lshlrev_b32_e32 v132, 1, v119
	v_lshlrev_b32_e32 v134, 4, v36
	;; [unrolled: 1-line block ×4, first 2 shown]
	v_lshrrev_b32_e32 v133, 1, v120
	v_lshlrev_b64 v[36:37], 1, v[34:35]
	v_lshlrev_b64 v[34:35], 1, v[54:55]
	;; [unrolled: 1-line block ×18, first 2 shown]
	s_cbranch_scc1 .LBB0_67
; %bb.33:                               ; %.lr.ph
	.loc	1 83 29                         ; attention_aot.py:83:29 @[ attention_aot.py:258:12 ]
	v_mov_b32_e32 v1, 0x3fb8aa3b
	v_mul_f32_e32 v145, s14, v1
	v_add_u32_e32 v1, 0, v134
	v_add_u32_e32 v146, v1, v132
	;; [unrolled: 1-line block ×3, first 2 shown]
	.loc	1 50 33                         ; attention_aot.py:50:33 @[ attention_aot.py:258:12 ]
	v_add_co_u32_e32 v1, vcc, v36, v34
	v_addc_co_u32_e32 v7, vcc, v37, v35, vcc
	v_mov_b32_e32 v8, s11
	v_add_co_u32_e32 v70, vcc, s10, v1
	v_addc_co_u32_e32 v1, vcc, v8, v7, vcc
	v_add_co_u32_e32 v7, vcc, v38, v34
	v_addc_co_u32_e32 v8, vcc, v39, v35, vcc
	v_mov_b32_e32 v9, s11
	v_add_co_u32_e32 v72, vcc, s10, v7
	v_addc_co_u32_e32 v71, vcc, v9, v8, vcc
	v_add_co_u32_e32 v7, vcc, v40, v34
	v_addc_co_u32_e32 v8, vcc, v41, v35, vcc
	;; [unrolled: 2-line block ×14, first 2 shown]
	v_mov_b32_e32 v9, s9
	v_add_co_u32_e32 v86, vcc, s8, v7
	v_addc_co_u32_e32 v85, vcc, v9, v8, vcc
	v_add_co_u32_e32 v7, vcc, v54, v66
	v_addc_co_u32_e32 v8, vcc, v55, v67, vcc
	;; [unrolled: 2-line block ×14, first 2 shown]
	v_or_b32_e32 v2, 0x400, v143
	v_or_b32_e32 v3, 0xc00, v143
	;; [unrolled: 1-line block ×4, first 2 shown]
	s_ashr_i32 s49, s48, 31
	s_ashr_i32 s45, s44, 31
	v_add_co_u32_e32 v100, vcc, s8, v7
	v_mov_b32_e32 v16, 0
	v_lshl_add_u32 v153, v119, 2, 0
	v_add_u32_e32 v154, v146, v134
	s_lshl_b64 s[54:55], s[52:53], 1
	s_lshl_b64 s[56:57], s[44:45], 1
	;; [unrolled: 1-line block ×3, first 2 shown]
	v_addc_co_u32_e32 v99, vcc, v9, v8, vcc
	v_add_u32_e32 v147, 0, v2
	v_add_u32_e32 v148, 0, v3
	;; [unrolled: 1-line block ×4, first 2 shown]
	s_mov_b32 s45, 0x5040100
	v_add_u32_e32 v151, v6, v132
	v_mov_b32_e32 v17, v16
	v_mov_b32_e32 v14, v16
	;; [unrolled: 1-line block ×15, first 2 shown]
	v_xor_b32_e32 v152, 0x80, v144
	v_mov_b32_e32 v159, 0xff800000
	v_mov_b32_e32 v158, 1.0
	v_add_u32_e32 v155, v153, v121
	v_add_u32_e32 v156, v154, v133
	v_mov_b32_e32 v157, 0xff800000
	s_branch .LBB0_35
.LBB0_34:                               ;   in Loop: Header=BB0_35 Depth=1
	.loc	1 0 33 is_stmt 0                ; attention_aot.py:0:33
	s_or_b64 exec, exec, s[0:1]
	.loc	1 54 22 is_stmt 1               ; attention_aot.py:54:22 @[ attention_aot.py:258:12 ]
	v_add_u32_e32 v168, 0, v143
	s_waitcnt lgkmcnt(0)
	s_barrier
	s_waitcnt vmcnt(0)
	ds_write_b16 v168, v18
	ds_write_b16 v147, v20
	ds_write_b16 v168, v19 offset:2048
	ds_write_b16 v148, v22
	ds_write_b16 v168, v21 offset:4096
	;; [unrolled: 2-line block ×3, first 2 shown]
	ds_write_b16 v150, v25
	s_waitcnt lgkmcnt(0)
	s_barrier
	ds_read_u16 v18, v146
	ds_read_u16 v19, v146 offset:128
	ds_read_u16 v20, v146 offset:256
	;; [unrolled: 1-line block ×23, first 2 shown]
	.loc	1 58 27                         ; attention_aot.py:58:27 @[ attention_aot.py:258:12 ]
	s_waitcnt lgkmcnt(14)
	v_perm_b32 v187, v21, v20, s45
	v_perm_b32 v186, v19, v18, s45
	s_waitcnt lgkmcnt(12)
	v_perm_b32 v189, v29, v28, s45
	v_perm_b32 v188, v27, v26, s45
	.loc	1 54 22                         ; attention_aot.py:54:22 @[ attention_aot.py:258:12 ]
	ds_read_u16 v18, v146 offset:3072
	ds_read_u16 v19, v146 offset:3200
	;; [unrolled: 1-line block ×8, first 2 shown]
	.loc	1 58 27                         ; attention_aot.py:58:27 @[ attention_aot.py:258:12 ]
	s_waitcnt lgkmcnt(14)
	v_perm_b32 v190, v103, v102, s45
	v_perm_b32 v103, v22, v23, s45
	;; [unrolled: 1-line block ×3, first 2 shown]
	.loc	1 54 22                         ; attention_aot.py:54:22 @[ attention_aot.py:258:12 ]
	ds_read_u16 v22, v146 offset:4096
	ds_read_u16 v23, v146 offset:4224
	;; [unrolled: 1-line block ×8, first 2 shown]
	.loc	1 58 27                         ; attention_aot.py:58:27 @[ attention_aot.py:258:12 ]
	s_waitcnt lgkmcnt(14)
	v_perm_b32 v191, v105, v104, s45
	v_perm_b32 v105, v30, v31, s45
	;; [unrolled: 1-line block ×5, first 2 shown]
	.loc	1 54 22                         ; attention_aot.py:54:22 @[ attention_aot.py:258:12 ]
	ds_read_u16 v30, v146 offset:5120
	ds_read_u16 v31, v146 offset:5248
	;; [unrolled: 1-line block ×8, first 2 shown]
	.loc	1 58 27                         ; attention_aot.py:58:27 @[ attention_aot.py:258:12 ]
	s_waitcnt lgkmcnt(14)
	v_perm_b32 v193, v21, v20, s45
	v_perm_b32 v192, v19, v18, s45
	s_waitcnt lgkmcnt(12)
	v_perm_b32 v195, v25, v24, s45
	v_perm_b32 v194, v23, v22, s45
	.loc	1 54 22                         ; attention_aot.py:54:22 @[ attention_aot.py:258:12 ]
	ds_read_u16 v18, v146 offset:6144
	ds_read_u16 v19, v146 offset:6272
	;; [unrolled: 1-line block ×8, first 2 shown]
	.loc	1 58 27                         ; attention_aot.py:58:27 @[ attention_aot.py:258:12 ]
	s_waitcnt lgkmcnt(14)
	v_perm_b32 v196, v31, v30, s45
	s_waitcnt lgkmcnt(12)
	v_perm_b32 v197, v33, v32, s45
	;; [unrolled: 2-line block ×4, first 2 shown]
	.loc	1 54 22                         ; attention_aot.py:54:22 @[ attention_aot.py:258:12 ]
	ds_read_u16 v18, v146 offset:7168
	ds_read_u16 v19, v146 offset:7296
	;; [unrolled: 1-line block ×8, first 2 shown]
	.loc	1 58 27                         ; attention_aot.py:58:27 @[ attention_aot.py:258:12 ]
	v_perm_b32 v111, v108, v109, s45
	s_waitcnt lgkmcnt(10)
	v_perm_b32 v113, v22, v23, s45
	s_waitcnt lgkmcnt(6)
	;; [unrolled: 2-line block ×4, first 2 shown]
	v_perm_b32 v109, v30, v31, s45
	v_perm_b32 v115, v26, v27, s45
	;; [unrolled: 1-line block ×5, first 2 shown]
	s_waitcnt lgkmcnt(0)
	v_perm_b32 v108, v32, v33, s45
	v_mfma_f32_32x32x8f16 v[18:33], v[186:187], v[184:185], 0
	.loc	1 51 34                         ; attention_aot.py:51:34 @[ attention_aot.py:258:12 ]
	v_add_u32_e32 v169, s47, v101
	v_add_u32_e32 v215, 26, v169
	;; [unrolled: 1-line block ×15, first 2 shown]
	.loc	1 58 27                         ; attention_aot.py:58:27 @[ attention_aot.py:258:12 ]
	v_mfma_f32_32x32x8f16 v[18:33], v[188:189], v[176:177], v[18:33]
	.loc	1 51 34                         ; attention_aot.py:51:34 @[ attention_aot.py:258:12 ]
	v_add_u32_e32 v216, 27, v169
	.loc	1 51 44 is_stmt 0               ; attention_aot.py:51:44 @[ attention_aot.py:258:12 ]
	v_cmp_gt_i32_e64 s[38:39], s61, v215
	.loc	1 51 34                         ; attention_aot.py:51:34 @[ attention_aot.py:258:12 ]
	v_add_u32_e32 v217, 32, v169
	v_add_u32_e32 v218, 33, v169
	v_add_u32_e32 v219, 34, v169
	v_add_u32_e32 v220, 35, v169
	v_add_u32_e32 v221, 40, v169
	v_add_u32_e32 v222, 41, v169
	v_add_u32_e32 v223, 42, v169
	v_add_u32_e32 v224, 43, v169
	v_add_u32_e32 v225, 48, v169
	v_add_u32_e32 v226, 49, v169
	v_add_u32_e32 v227, 50, v169
	v_add_u32_e32 v228, 51, v169
	.loc	1 58 27 is_stmt 1               ; attention_aot.py:58:27 @[ attention_aot.py:258:12 ]
	v_perm_b32 v116, v116, v229, s45
	v_mfma_f32_32x32x8f16 v[18:33], v[190:191], v[174:175], v[18:33]
	v_perm_b32 v110, v230, v231, s45
	.loc	1 51 34                         ; attention_aot.py:51:34 @[ attention_aot.py:258:12 ]
	v_add_u32_e32 v186, 56, v169
	v_add_u32_e32 v187, 57, v169
	;; [unrolled: 1-line block ×4, first 2 shown]
	.loc	1 51 44 is_stmt 0               ; attention_aot.py:51:44 @[ attention_aot.py:258:12 ]
	v_cmp_gt_i32_e32 vcc, s61, v169
	v_cmp_gt_i32_e64 s[0:1], s61, v202
	v_cmp_gt_i32_e64 s[2:3], s61, v203
	v_cmp_gt_i32_e64 s[6:7], s61, v204
	v_cmp_gt_i32_e64 s[12:13], s61, v205
	v_cmp_gt_i32_e64 s[18:19], s61, v206
	v_cmp_gt_i32_e64 s[20:21], s61, v207
	v_cmp_gt_i32_e64 s[22:23], s61, v208
	v_cmp_gt_i32_e64 s[24:25], s61, v209
	v_cmp_gt_i32_e64 s[26:27], s61, v210
	.loc	1 58 27 is_stmt 1               ; attention_aot.py:58:27 @[ attention_aot.py:258:12 ]
	v_mfma_f32_32x32x8f16 v[18:33], v[192:193], v[172:173], v[18:33]
	.loc	1 51 44                         ; attention_aot.py:51:44 @[ attention_aot.py:258:12 ]
	v_cmp_gt_i32_e64 s[28:29], s61, v211
	v_cmp_gt_i32_e64 s[30:31], s61, v212
	;; [unrolled: 1-line block ×4, first 2 shown]
	.loc	1 95 20                         ; attention_aot.py:95:20 @[ attention_aot.py:258:12 ]
	s_waitcnt lgkmcnt(0)
	s_barrier
	.loc	1 50 33                         ; attention_aot.py:50:33 @[ attention_aot.py:258:12 ]
	s_add_i32 s47, s47, 64
	s_cmp_lt_i32 s47, s15
	.loc	1 58 27                         ; attention_aot.py:58:27 @[ attention_aot.py:258:12 ]
	v_mfma_f32_32x32x8f16 v[18:33], v[194:195], v[182:183], v[18:33]
	v_mfma_f32_32x32x8f16 v[18:33], v[196:197], v[180:181], v[18:33]
	;; [unrolled: 1-line block ×4, first 2 shown]
	.loc	1 60 49                         ; attention_aot.py:60:49 @[ attention_aot.py:258:12 ]
	s_nop 15
	s_nop 2
	v_cndmask_b32_e64 v169, v157, v32, s[38:39]
	.loc	1 51 44                         ; attention_aot.py:51:44 @[ attention_aot.py:258:12 ]
	v_cmp_gt_i32_e64 s[38:39], s61, v216
	.loc	1 60 49                         ; attention_aot.py:60:49 @[ attention_aot.py:258:12 ]
	v_cndmask_b32_e64 v188, v157, v33, s[38:39]
	v_cndmask_b32_e32 v189, v157, v18, vcc
	v_cndmask_b32_e64 v190, v157, v19, s[0:1]
	v_cndmask_b32_e64 v191, v157, v20, s[2:3]
	;; [unrolled: 1-line block ×13, first 2 shown]
	.loc	1 58 27                         ; attention_aot.py:58:27 @[ attention_aot.py:258:12 ]
	v_mfma_f32_32x32x8f16 v[18:33], v[102:103], v[184:185], 0
	.loc	1 51 44                         ; attention_aot.py:51:44 @[ attention_aot.py:258:12 ]
	v_cmp_gt_i32_e32 vcc, s61, v217
	.loc	1 83 18                         ; attention_aot.py:83:18 @[ attention_aot.py:258:12 ]
	v_mul_f32_e32 v102, v145, v189
	v_mul_f32_e32 v103, v145, v190
.Ltmp5:
	.file	2 "/root/.local/lib/python3.13/site-packages/triton/language" "standard.py"
	.loc	2 170 27                        ; standard.py:170:27 @[ standard.py:191:40 @[ attention_aot.py:86:46 @[ attention_aot.py:258:12 ] ] ]
	v_max_f32_e32 v102, v102, v103
.Ltmp6:
	.loc	1 58 27                         ; attention_aot.py:58:27 @[ attention_aot.py:258:12 ]
	v_mfma_f32_32x32x8f16 v[18:33], v[104:105], v[176:177], v[18:33]
	.loc	1 83 18                         ; attention_aot.py:83:18 @[ attention_aot.py:258:12 ]
	v_mul_f32_e32 v104, v145, v191
	v_mul_f32_e32 v105, v145, v192
.Ltmp7:
	.loc	2 170 27                        ; standard.py:170:27 @[ standard.py:191:40 @[ attention_aot.py:86:46 @[ attention_aot.py:258:12 ] ] ]
	v_max3_f32 v102, v102, v104, v105
.Ltmp8:
	.loc	1 58 27                         ; attention_aot.py:58:27 @[ attention_aot.py:258:12 ]
	v_mfma_f32_32x32x8f16 v[18:33], v[106:107], v[174:175], v[18:33]
	.loc	1 83 18                         ; attention_aot.py:83:18 @[ attention_aot.py:258:12 ]
	v_mul_f32_e32 v106, v145, v193
	v_mul_f32_e32 v107, v145, v194
.Ltmp9:
	.loc	2 170 27                        ; standard.py:170:27 @[ standard.py:191:40 @[ attention_aot.py:86:46 @[ attention_aot.py:258:12 ] ] ]
	v_max3_f32 v102, v102, v106, v107
.Ltmp10:
	.loc	1 58 27                         ; attention_aot.py:58:27 @[ attention_aot.py:258:12 ]
	v_mfma_f32_32x32x8f16 v[18:33], v[114:115], v[172:173], v[18:33]
	.loc	1 83 18                         ; attention_aot.py:83:18 @[ attention_aot.py:258:12 ]
	v_mul_f32_e32 v114, v145, v201
	v_mul_f32_e32 v115, v145, v202
	.loc	1 58 27                         ; attention_aot.py:58:27 @[ attention_aot.py:258:12 ]
	v_mfma_f32_32x32x8f16 v[18:33], v[116:117], v[182:183], v[18:33]
	.loc	1 83 18                         ; attention_aot.py:83:18 @[ attention_aot.py:258:12 ]
	v_mul_f32_e32 v116, v145, v169
	v_mul_f32_e32 v117, v145, v188
	;; [unrolled: 5-line block ×5, first 2 shown]
.Ltmp11:
	.loc	2 170 27                        ; standard.py:170:27 @[ standard.py:191:40 @[ attention_aot.py:86:46 @[ attention_aot.py:258:12 ] ] ]
	v_max3_f32 v102, v102, v108, v109
	v_max3_f32 v102, v102, v110, v111
	;; [unrolled: 1-line block ×5, first 2 shown]
.Ltmp12:
	.loc	1 60 49                         ; attention_aot.py:60:49 @[ attention_aot.py:258:12 ]
	s_nop 11
	v_cndmask_b32_e32 v18, v157, v18, vcc
	.loc	1 51 44                         ; attention_aot.py:51:44 @[ attention_aot.py:258:12 ]
	v_cmp_gt_i32_e32 vcc, s61, v218
	.loc	1 60 49                         ; attention_aot.py:60:49 @[ attention_aot.py:258:12 ]
	v_cndmask_b32_e32 v19, v157, v19, vcc
	.loc	1 51 44                         ; attention_aot.py:51:44 @[ attention_aot.py:258:12 ]
	v_cmp_gt_i32_e32 vcc, s61, v219
	.loc	1 60 49                         ; attention_aot.py:60:49 @[ attention_aot.py:258:12 ]
	v_cndmask_b32_e32 v20, v157, v20, vcc
	.loc	1 51 44                         ; attention_aot.py:51:44 @[ attention_aot.py:258:12 ]
	v_cmp_gt_i32_e32 vcc, s61, v220
	.loc	1 60 49                         ; attention_aot.py:60:49 @[ attention_aot.py:258:12 ]
	v_cndmask_b32_e32 v21, v157, v21, vcc
	.loc	1 51 44                         ; attention_aot.py:51:44 @[ attention_aot.py:258:12 ]
	v_cmp_gt_i32_e32 vcc, s61, v221
	.loc	1 60 49                         ; attention_aot.py:60:49 @[ attention_aot.py:258:12 ]
	v_cndmask_b32_e32 v22, v157, v22, vcc
	.loc	1 51 44                         ; attention_aot.py:51:44 @[ attention_aot.py:258:12 ]
	v_cmp_gt_i32_e32 vcc, s61, v222
	.loc	1 60 49                         ; attention_aot.py:60:49 @[ attention_aot.py:258:12 ]
	v_cndmask_b32_e32 v23, v157, v23, vcc
	.loc	1 51 44                         ; attention_aot.py:51:44 @[ attention_aot.py:258:12 ]
	v_cmp_gt_i32_e32 vcc, s61, v223
	.loc	1 60 49                         ; attention_aot.py:60:49 @[ attention_aot.py:258:12 ]
	v_cndmask_b32_e32 v24, v157, v24, vcc
	.loc	1 51 44                         ; attention_aot.py:51:44 @[ attention_aot.py:258:12 ]
	v_cmp_gt_i32_e32 vcc, s61, v224
	.loc	1 60 49                         ; attention_aot.py:60:49 @[ attention_aot.py:258:12 ]
	v_cndmask_b32_e32 v25, v157, v25, vcc
	.loc	1 51 44                         ; attention_aot.py:51:44 @[ attention_aot.py:258:12 ]
	v_cmp_gt_i32_e32 vcc, s61, v225
	.loc	1 60 49                         ; attention_aot.py:60:49 @[ attention_aot.py:258:12 ]
	v_cndmask_b32_e32 v26, v157, v26, vcc
	.loc	1 51 44                         ; attention_aot.py:51:44 @[ attention_aot.py:258:12 ]
	v_cmp_gt_i32_e32 vcc, s61, v226
	.loc	1 60 49                         ; attention_aot.py:60:49 @[ attention_aot.py:258:12 ]
	v_cndmask_b32_e32 v27, v157, v27, vcc
	.loc	1 51 44                         ; attention_aot.py:51:44 @[ attention_aot.py:258:12 ]
	v_cmp_gt_i32_e32 vcc, s61, v227
	.loc	1 60 49                         ; attention_aot.py:60:49 @[ attention_aot.py:258:12 ]
	v_cndmask_b32_e32 v28, v157, v28, vcc
	.loc	1 51 44                         ; attention_aot.py:51:44 @[ attention_aot.py:258:12 ]
	v_cmp_gt_i32_e32 vcc, s61, v228
	.loc	1 60 49                         ; attention_aot.py:60:49 @[ attention_aot.py:258:12 ]
	v_cndmask_b32_e32 v29, v157, v29, vcc
	.loc	1 51 44                         ; attention_aot.py:51:44 @[ attention_aot.py:258:12 ]
	v_cmp_gt_i32_e32 vcc, s61, v186
	.loc	1 83 18                         ; attention_aot.py:83:18 @[ attention_aot.py:258:12 ]
	v_mul_f32_e32 v186, v145, v18
	v_mul_f32_e32 v103, v145, v19
	v_mul_f32_e32 v104, v145, v20
	v_mul_f32_e32 v105, v145, v21
.Ltmp13:
	.loc	2 170 27                        ; standard.py:170:27 @[ standard.py:191:40 @[ attention_aot.py:86:46 @[ attention_aot.py:258:12 ] ] ]
	v_max3_f32 v102, v102, v186, v103
.Ltmp14:
	.loc	1 83 18                         ; attention_aot.py:83:18 @[ attention_aot.py:258:12 ]
	v_mul_f32_e32 v106, v145, v22
	v_mul_f32_e32 v107, v145, v23
.Ltmp15:
	.loc	2 170 27                        ; standard.py:170:27 @[ standard.py:191:40 @[ attention_aot.py:86:46 @[ attention_aot.py:258:12 ] ] ]
	v_max3_f32 v102, v102, v104, v105
.Ltmp16:
	.loc	1 60 49                         ; attention_aot.py:60:49 @[ attention_aot.py:258:12 ]
	v_cndmask_b32_e32 v30, v157, v30, vcc
	.loc	1 51 44                         ; attention_aot.py:51:44 @[ attention_aot.py:258:12 ]
	v_cmp_gt_i32_e32 vcc, s61, v187
	.loc	1 83 18                         ; attention_aot.py:83:18 @[ attention_aot.py:258:12 ]
	v_mul_f32_e32 v108, v145, v24
	v_mul_f32_e32 v109, v145, v25
.Ltmp17:
	.loc	2 170 27                        ; standard.py:170:27 @[ standard.py:191:40 @[ attention_aot.py:86:46 @[ attention_aot.py:258:12 ] ] ]
	v_max3_f32 v102, v102, v106, v107
.Ltmp18:
	.loc	1 60 49                         ; attention_aot.py:60:49 @[ attention_aot.py:258:12 ]
	v_cndmask_b32_e32 v31, v157, v31, vcc
	.loc	1 51 44                         ; attention_aot.py:51:44 @[ attention_aot.py:258:12 ]
	v_cmp_gt_i32_e32 vcc, s61, v229
	.loc	1 83 18                         ; attention_aot.py:83:18 @[ attention_aot.py:258:12 ]
	v_mul_f32_e32 v110, v145, v26
	v_mul_f32_e32 v111, v145, v27
.Ltmp19:
	.loc	2 170 27                        ; standard.py:170:27 @[ standard.py:191:40 @[ attention_aot.py:86:46 @[ attention_aot.py:258:12 ] ] ]
	v_max3_f32 v102, v102, v108, v109
.Ltmp20:
	.loc	1 60 49                         ; attention_aot.py:60:49 @[ attention_aot.py:258:12 ]
	v_cndmask_b32_e32 v32, v157, v32, vcc
	.loc	1 51 44                         ; attention_aot.py:51:44 @[ attention_aot.py:258:12 ]
	v_cmp_gt_i32_e32 vcc, s61, v230
	.loc	1 83 18                         ; attention_aot.py:83:18 @[ attention_aot.py:258:12 ]
	v_mul_f32_e32 v112, v145, v28
	v_mul_f32_e32 v113, v145, v29
.Ltmp21:
	.loc	2 170 27                        ; standard.py:170:27 @[ standard.py:191:40 @[ attention_aot.py:86:46 @[ attention_aot.py:258:12 ] ] ]
	v_max3_f32 v102, v102, v110, v111
.Ltmp22:
	.loc	1 60 49                         ; attention_aot.py:60:49 @[ attention_aot.py:258:12 ]
	v_cndmask_b32_e32 v33, v157, v33, vcc
	.loc	1 83 18                         ; attention_aot.py:83:18 @[ attention_aot.py:258:12 ]
	v_mul_f32_e32 v114, v145, v30
	v_mul_f32_e32 v115, v145, v31
.Ltmp23:
	.loc	2 170 27                        ; standard.py:170:27 @[ standard.py:191:40 @[ attention_aot.py:86:46 @[ attention_aot.py:258:12 ] ] ]
	v_max3_f32 v102, v102, v112, v113
.Ltmp24:
	.loc	1 83 18                         ; attention_aot.py:83:18 @[ attention_aot.py:258:12 ]
	v_mul_f32_e32 v116, v145, v32
	v_mul_f32_e32 v117, v145, v33
.Ltmp25:
	.loc	2 170 27                        ; standard.py:170:27 @[ standard.py:191:40 @[ attention_aot.py:86:46 @[ attention_aot.py:258:12 ] ] ]
	v_max3_f32 v102, v102, v114, v115
	v_max3_f32 v102, v102, v116, v117
.Ltmp26:
	.loc	2 191 40                        ; standard.py:191:40 @[ attention_aot.py:86:46 @[ attention_aot.py:258:12 ] ]
	ds_bpermute_b32 v103, v152, v102
.Ltmp27:
	.loc	1 50 33                         ; attention_aot.py:50:33 @[ attention_aot.py:258:12 ]
	v_add_co_u32_e32 v70, vcc, s56, v70
	.loc	1 86 35                         ; attention_aot.py:86:35 @[ attention_aot.py:258:12 ]
	s_waitcnt lgkmcnt(0)
	v_max3_f32 v102, v159, v102, v103
	.loc	1 87 22                         ; attention_aot.py:87:22 @[ attention_aot.py:258:12 ]
	v_fma_f32 v103, v145, v189, -v102
	v_fma_f32 v104, v145, v190, -v102
	;; [unrolled: 1-line block ×7, first 2 shown]
	.loc	1 89 25                         ; attention_aot.py:89:25 @[ attention_aot.py:258:12 ]
	v_exp_f32_e32 v103, v103
	v_exp_f32_e32 v104, v104
	;; [unrolled: 1-line block ×6, first 2 shown]
	.loc	1 87 22                         ; attention_aot.py:87:22 @[ attention_aot.py:258:12 ]
	v_fma_f32 v110, v145, v196, -v102
	.loc	1 89 25                         ; attention_aot.py:89:25 @[ attention_aot.py:258:12 ]
	v_exp_f32_e32 v109, v109
	.loc	1 87 22                         ; attention_aot.py:87:22 @[ attention_aot.py:258:12 ]
	v_fma_f32 v111, v145, v197, -v102
	v_fma_f32 v18, v145, v18, -v102
	.loc	1 89 25                         ; attention_aot.py:89:25 @[ attention_aot.py:258:12 ]
	v_exp_f32_e32 v110, v110
	.loc	1 87 22                         ; attention_aot.py:87:22 @[ attention_aot.py:258:12 ]
	v_fma_f32 v112, v145, v198, -v102
	v_fma_f32 v113, v145, v199, -v102
	;; [unrolled: 1-line block ×12, first 2 shown]
	.loc	1 89 25                         ; attention_aot.py:89:25 @[ attention_aot.py:258:12 ]
	v_exp_f32_e32 v111, v111
	v_exp_f32_e32 v186, v18
	.loc	1 92 35                         ; attention_aot.py:92:35 @[ attention_aot.py:258:12 ]
	v_sub_f32_e32 v18, v159, v102
	.loc	1 89 25                         ; attention_aot.py:89:25 @[ attention_aot.py:258:12 ]
	v_exp_f32_e32 v112, v112
	v_exp_f32_e32 v113, v113
	;; [unrolled: 1-line block ×12, first 2 shown]
	.loc	1 92 29                         ; attention_aot.py:92:29 @[ attention_aot.py:258:12 ]
	v_exp_f32_e32 v159, v18
	.loc	1 102 21                        ; attention_aot.py:102:21 @[ attention_aot.py:258:12 ]
	v_cvt_f16_f32_e32 v19, v103
	v_cvt_f16_f32_e32 v20, v104
	;; [unrolled: 1-line block ×8, first 2 shown]
	.loc	1 87 22                         ; attention_aot.py:87:22 @[ attention_aot.py:258:12 ]
	v_fma_f32 v24, v145, v24, -v102
	v_fma_f32 v25, v145, v25, -v102
	;; [unrolled: 1-line block ×10, first 2 shown]
	.loc	1 95 20                         ; attention_aot.py:95:20 @[ attention_aot.py:258:12 ]
	v_add_u32_e32 v18, v153, v120
	.loc	1 102 21                        ; attention_aot.py:102:21 @[ attention_aot.py:258:12 ]
	v_cvt_f16_f32_e32 v195, v111
	v_add_u32_e32 v200, v154, v131
	.loc	1 89 25                         ; attention_aot.py:89:25 @[ attention_aot.py:258:12 ]
	v_exp_f32_e32 v24, v24
	v_exp_f32_e32 v25, v25
	;; [unrolled: 1-line block ×10, first 2 shown]
	.loc	1 95 20                         ; attention_aot.py:95:20 @[ attention_aot.py:258:12 ]
	ds_write_b32 v155, v159
	s_waitcnt lgkmcnt(0)
	s_barrier
	ds_read_b32 v18, v18
	.loc	1 102 21                        ; attention_aot.py:102:21 @[ attention_aot.py:258:12 ]
	v_cvt_f16_f32_e32 v196, v112
	v_cvt_f16_f32_e32 v197, v113
	;; [unrolled: 1-line block ×4, first 2 shown]
	s_waitcnt lgkmcnt(0)
	s_barrier
	ds_write_b16 v200, v19
	v_cvt_f16_f32_e32 v19, v116
	ds_write_b16 v200, v20 offset:256
	v_cvt_f16_f32_e32 v20, v117
	ds_write_b16 v200, v21 offset:512
	;; [unrolled: 2-line block ×19, first 2 shown]
	ds_write_b16 v200, v194 offset:10240
	ds_write_b16 v200, v195 offset:10496
	;; [unrolled: 1-line block ×12, first 2 shown]
	s_waitcnt lgkmcnt(0)
	s_barrier
	ds_read_u16 v19, v156
	ds_read_u16 v20, v156 offset:256
	ds_read_u16 v21, v156 offset:512
	;; [unrolled: 1-line block ×31, first 2 shown]
	.loc	1 56 28                         ; attention_aot.py:56:28 @[ attention_aot.py:258:12 ]
	s_waitcnt lgkmcnt(0)
	s_barrier
	ds_write_b16 v168, v161
	ds_write_b16 v168, v163 offset:2048
	ds_write_b16 v168, v164 offset:4096
	ds_write_b16 v168, v166 offset:6144
	ds_write_b16 v147, v160
	ds_write_b16 v148, v162
	;; [unrolled: 1-line block ×4, first 2 shown]
	s_waitcnt lgkmcnt(0)
	s_barrier
	ds_read_u16 v23, v151 offset:256
	ds_read_u16 v160, v151 offset:384
	ds_read_u16 v161, v151
	ds_read_u16 v162, v151 offset:1408
	ds_read_u16 v163, v151 offset:1024
	;; [unrolled: 1-line block ×4, first 2 shown]
	.loc	1 104 31                        ; attention_aot.py:104:31 @[ attention_aot.py:258:12 ]
	v_perm_b32 v21, v22, v21, s45
	s_waitcnt lgkmcnt(5)
	v_perm_b32 v23, v160, v23, s45
	v_perm_b32 v20, v20, v19, s45
	v_pk_mul_f32 v[16:17], v[16:17], v[18:19] op_sel_hi:[1,0]
	s_waitcnt lgkmcnt(0)
	v_perm_b32 v22, v165, v161, s45
	v_pk_mul_f32 v[14:15], v[14:15], v[18:19] op_sel_hi:[1,0]
	v_pk_mul_f32 v[12:13], v[12:13], v[18:19] op_sel_hi:[1,0]
	;; [unrolled: 1-line block ×7, first 2 shown]
	.loc	1 56 28                         ; attention_aot.py:56:28 @[ attention_aot.py:258:12 ]
	ds_read_u16 v18, v151 offset:1280
	.loc	1 104 31                        ; attention_aot.py:104:31 @[ attention_aot.py:258:12 ]
	s_waitcnt lgkmcnt(0)
	v_perm_b32 v19, v162, v18, s45
	v_mfma_f32_32x32x8f16 v[2:17], v[22:23], v[20:21], v[2:17]
	v_perm_b32 v18, v164, v163, s45
	v_perm_b32 v21, v195, v194, s45
	;; [unrolled: 1-line block ×3, first 2 shown]
	s_nop 1
	v_mfma_f32_32x32x8f16 v[2:17], v[18:19], v[20:21], v[2:17]
	.loc	1 56 28                         ; attention_aot.py:56:28 @[ attention_aot.py:258:12 ]
	ds_read_u16 v18, v151 offset:2304
	ds_read_u16 v19, v151 offset:2432
	;; [unrolled: 1-line block ×8, first 2 shown]
	.loc	1 104 31                        ; attention_aot.py:104:31 @[ attention_aot.py:258:12 ]
	s_waitcnt lgkmcnt(6)
	v_perm_b32 v19, v19, v18, s45
	s_waitcnt lgkmcnt(0)
	v_perm_b32 v18, v21, v20, s45
	v_perm_b32 v21, v199, v198, s45
	;; [unrolled: 1-line block ×3, first 2 shown]
	s_nop 1
	v_mfma_f32_32x32x8f16 v[2:17], v[18:19], v[20:21], v[2:17]
.Ltmp28:
	.loc	2 263 15                        ; standard.py:263:15 @[ standard.py:293:36 @[ attention_aot.py:90:25 @[ attention_aot.py:258:12 ] ] ]
	v_add_f32_e32 v18, v103, v104
	v_add_f32_e32 v18, v105, v18
	;; [unrolled: 1-line block ×6, first 2 shown]
.Ltmp29:
	.loc	1 104 31                        ; attention_aot.py:104:31 @[ attention_aot.py:258:12 ]
	v_perm_b32 v19, v161, v160, s45
	v_perm_b32 v18, v23, v22, s45
.Ltmp30:
	.loc	2 263 15                        ; standard.py:263:15 @[ standard.py:293:36 @[ attention_aot.py:90:25 @[ attention_aot.py:258:12 ] ] ]
	v_add_f32_e32 v20, v110, v20
	v_add_f32_e32 v22, v111, v20
.Ltmp31:
	.loc	1 104 31                        ; attention_aot.py:104:31 @[ attention_aot.py:258:12 ]
	v_perm_b32 v21, v203, v202, s45
	v_perm_b32 v20, v201, v200, s45
	s_nop 1
	v_mfma_f32_32x32x8f16 v[2:17], v[18:19], v[20:21], v[2:17]
.Ltmp32:
	.loc	2 263 15                        ; standard.py:263:15 @[ standard.py:293:36 @[ attention_aot.py:90:25 @[ attention_aot.py:258:12 ] ] ]
	v_add_f32_e32 v20, v112, v22
.Ltmp33:
	.loc	1 56 28                         ; attention_aot.py:56:28 @[ attention_aot.py:258:12 ]
	ds_read_u16 v18, v151 offset:4096
	ds_read_u16 v21, v151 offset:4224
	;; [unrolled: 1-line block ×8, first 2 shown]
	.loc	1 104 31                        ; attention_aot.py:104:31 @[ attention_aot.py:258:12 ]
	s_waitcnt lgkmcnt(4)
	v_perm_b32 v19, v22, v19, s45
	v_perm_b32 v18, v21, v18, s45
.Ltmp34:
	.loc	2 263 15                        ; standard.py:263:15 @[ standard.py:293:36 @[ attention_aot.py:90:25 @[ attention_aot.py:258:12 ] ] ]
	v_add_f32_e32 v20, v113, v20
	v_add_f32_e32 v22, v114, v20
.Ltmp35:
	.loc	1 104 31                        ; attention_aot.py:104:31 @[ attention_aot.py:258:12 ]
	v_perm_b32 v21, v207, v206, s45
	v_perm_b32 v20, v205, v204, s45
	s_nop 1
	v_mfma_f32_32x32x8f16 v[2:17], v[18:19], v[20:21], v[2:17]
.Ltmp36:
	.loc	2 263 15                        ; standard.py:263:15 @[ standard.py:293:36 @[ attention_aot.py:90:25 @[ attention_aot.py:258:12 ] ] ]
	v_add_f32_e32 v18, v115, v22
	v_add_f32_e32 v18, v116, v18
	;; [unrolled: 1-line block ×9, first 2 shown]
.Ltmp37:
	.loc	1 104 31                        ; attention_aot.py:104:31 @[ attention_aot.py:258:12 ]
	s_waitcnt lgkmcnt(0)
	v_perm_b32 v19, v105, v104, s45
	v_perm_b32 v18, v103, v23, s45
.Ltmp38:
	.loc	2 263 15                        ; standard.py:263:15 @[ standard.py:293:36 @[ attention_aot.py:90:25 @[ attention_aot.py:258:12 ] ] ]
	v_add_f32_e32 v20, v191, v20
	v_add_f32_e32 v22, v24, v20
.Ltmp39:
	.loc	1 104 31                        ; attention_aot.py:104:31 @[ attention_aot.py:258:12 ]
	v_perm_b32 v21, v211, v210, s45
	v_perm_b32 v20, v209, v208, s45
	s_nop 1
	v_mfma_f32_32x32x8f16 v[2:17], v[18:19], v[20:21], v[2:17]
.Ltmp40:
	.loc	2 263 15                        ; standard.py:263:15 @[ standard.py:293:36 @[ attention_aot.py:90:25 @[ attention_aot.py:258:12 ] ] ]
	v_add_f32_e32 v20, v25, v22
.Ltmp41:
	.loc	1 56 28                         ; attention_aot.py:56:28 @[ attention_aot.py:258:12 ]
	ds_read_u16 v18, v151 offset:6144
	ds_read_u16 v21, v151 offset:6272
	;; [unrolled: 1-line block ×8, first 2 shown]
	.loc	1 104 31                        ; attention_aot.py:104:31 @[ attention_aot.py:258:12 ]
	s_waitcnt lgkmcnt(4)
	v_perm_b32 v19, v22, v19, s45
	v_perm_b32 v18, v21, v18, s45
.Ltmp42:
	.loc	2 263 15                        ; standard.py:263:15 @[ standard.py:293:36 @[ attention_aot.py:90:25 @[ attention_aot.py:258:12 ] ] ]
	v_add_f32_e32 v20, v26, v20
	v_add_f32_e32 v22, v27, v20
.Ltmp43:
	.loc	1 104 31                        ; attention_aot.py:104:31 @[ attention_aot.py:258:12 ]
	v_perm_b32 v21, v215, v214, s45
	v_perm_b32 v20, v213, v212, s45
	s_nop 1
	v_mfma_f32_32x32x8f16 v[2:17], v[18:19], v[20:21], v[2:17]
.Ltmp44:
	.loc	2 263 15                        ; standard.py:263:15 @[ standard.py:293:36 @[ attention_aot.py:90:25 @[ attention_aot.py:258:12 ] ] ]
	v_add_f32_e32 v18, v28, v22
	v_add_f32_e32 v18, v29, v18
	;; [unrolled: 1-line block ×6, first 2 shown]
.Ltmp45:
	.loc	2 293 36                        ; standard.py:293:36 @[ attention_aot.py:90:25 @[ attention_aot.py:258:12 ] ]
	ds_bpermute_b32 v21, v152, v20
.Ltmp46:
	.loc	1 104 31                        ; attention_aot.py:104:31 @[ attention_aot.py:258:12 ]
	s_waitcnt lgkmcnt(1)
	v_perm_b32 v19, v103, v25, s45
	v_perm_b32 v18, v24, v23, s45
.Ltmp47:
	.loc	2 263 15                        ; standard.py:263:15 @[ standard.py:293:36 @[ attention_aot.py:90:25 @[ attention_aot.py:258:12 ] ] ]
	s_waitcnt lgkmcnt(0)
	v_add_f32_e32 v103, v20, v21
.Ltmp48:
	.loc	1 104 31                        ; attention_aot.py:104:31 @[ attention_aot.py:258:12 ]
	v_perm_b32 v21, v219, v218, s45
	v_perm_b32 v20, v217, v216, s45
	.loc	1 93 28                         ; attention_aot.py:93:28 @[ attention_aot.py:258:12 ]
	v_fmac_f32_e32 v103, v158, v159
	v_mov_b32_e32 v159, v102
	.loc	1 104 31                        ; attention_aot.py:104:31 @[ attention_aot.py:258:12 ]
	v_mfma_f32_32x32x8f16 v[2:17], v[18:19], v[20:21], v[2:17]
	.loc	1 50 33                         ; attention_aot.py:50:33 @[ attention_aot.py:258:12 ]
	v_mov_b32_e32 v18, s57
	v_addc_co_u32_e32 v1, vcc, v1, v18, vcc
	v_add_co_u32_e32 v72, vcc, s56, v72
	v_addc_co_u32_e32 v71, vcc, v71, v18, vcc
	v_add_co_u32_e32 v74, vcc, s56, v74
	;; [unrolled: 2-line block ×7, first 2 shown]
	v_addc_co_u32_e32 v83, vcc, v83, v18, vcc
	v_mov_b32_e32 v18, s59
	v_add_co_u32_e32 v86, vcc, s58, v86
	v_addc_co_u32_e32 v85, vcc, v85, v18, vcc
	v_add_co_u32_e32 v88, vcc, s58, v88
	v_addc_co_u32_e32 v87, vcc, v87, v18, vcc
	v_add_co_u32_e32 v90, vcc, s58, v90
	v_addc_co_u32_e32 v89, vcc, v89, v18, vcc
	v_add_co_u32_e32 v92, vcc, s58, v92
	v_addc_co_u32_e32 v91, vcc, v91, v18, vcc
	v_add_co_u32_e32 v94, vcc, s58, v94
	v_addc_co_u32_e32 v93, vcc, v93, v18, vcc
	v_add_co_u32_e32 v96, vcc, s58, v96
	v_addc_co_u32_e32 v95, vcc, v95, v18, vcc
	v_add_co_u32_e32 v98, vcc, s58, v98
	v_addc_co_u32_e32 v97, vcc, v97, v18, vcc
	v_add_co_u32_e32 v100, vcc, s58, v100
	v_addc_co_u32_e32 v99, vcc, v99, v18, vcc
	v_mov_b32_e32 v158, v103
	s_cbranch_scc0 .LBB0_68
.LBB0_35:                               ; =>This Inner Loop Header: Depth=1
	.loc	1 51 34                         ; attention_aot.py:51:34 @[ attention_aot.py:258:12 ]
	v_add_u32_e32 v18, s47, v130
	.loc	1 51 44 is_stmt 0               ; attention_aot.py:51:44 @[ attention_aot.py:258:12 ]
	s_waitcnt lgkmcnt(0)
	v_cmp_gt_i32_e32 vcc, s61, v18
	v_mov_b32_e32 v18, 0
	.loc	1 54 22 is_stmt 1               ; attention_aot.py:54:22 @[ attention_aot.py:258:12 ]
	s_and_saveexec_b64 s[2:3], vcc
	s_cbranch_execz .LBB0_37
; %bb.36:                               ;   in Loop: Header=BB0_35 Depth=1
	.loc	1 51 34                         ; attention_aot.py:51:34 @[ attention_aot.py:258:12 ]
	v_mov_b32_e32 v19, s55
	v_add_co_u32_e64 v18, s[0:1], s54, v100
	v_addc_co_u32_e64 v19, s[0:1], v99, v19, s[0:1]
	.loc	1 54 22                         ; attention_aot.py:54:22 @[ attention_aot.py:258:12 ]
	global_load_ushort v18, v[18:19], off
.LBB0_37:                               ;   in Loop: Header=BB0_35 Depth=1
	.loc	1 0 22 is_stmt 0                ; attention_aot.py:0:22
	s_or_b64 exec, exec, s[2:3]
	v_mov_b32_e32 v19, 0
	v_mov_b32_e32 v20, 0
	.loc	1 54 22                         ; attention_aot.py:54:22 @[ attention_aot.py:258:12 ]
	s_and_saveexec_b64 s[2:3], vcc
	s_cbranch_execz .LBB0_39
; %bb.38:                               ;   in Loop: Header=BB0_35 Depth=1
	.loc	1 51 34 is_stmt 1               ; attention_aot.py:51:34 @[ attention_aot.py:258:12 ]
	v_mov_b32_e32 v21, s55
	v_add_co_u32_e64 v20, s[0:1], s54, v98
	v_addc_co_u32_e64 v21, s[0:1], v97, v21, s[0:1]
	.loc	1 54 22                         ; attention_aot.py:54:22 @[ attention_aot.py:258:12 ]
	global_load_ushort v20, v[20:21], off
.LBB0_39:                               ;   in Loop: Header=BB0_35 Depth=1
	.loc	1 0 22 is_stmt 0                ; attention_aot.py:0:22
	s_or_b64 exec, exec, s[2:3]
	.loc	1 54 22                         ; attention_aot.py:54:22 @[ attention_aot.py:258:12 ]
	s_and_saveexec_b64 s[2:3], vcc
	s_cbranch_execz .LBB0_41
; %bb.40:                               ;   in Loop: Header=BB0_35 Depth=1
	.loc	1 51 34 is_stmt 1               ; attention_aot.py:51:34 @[ attention_aot.py:258:12 ]
	v_mov_b32_e32 v19, s55
	v_add_co_u32_e64 v22, s[0:1], s54, v96
	v_addc_co_u32_e64 v23, s[0:1], v95, v19, s[0:1]
	.loc	1 54 22                         ; attention_aot.py:54:22 @[ attention_aot.py:258:12 ]
	global_load_ushort v19, v[22:23], off
.LBB0_41:                               ;   in Loop: Header=BB0_35 Depth=1
	.loc	1 0 22 is_stmt 0                ; attention_aot.py:0:22
	s_or_b64 exec, exec, s[2:3]
	v_mov_b32_e32 v21, 0
	v_mov_b32_e32 v22, 0
	.loc	1 54 22                         ; attention_aot.py:54:22 @[ attention_aot.py:258:12 ]
	s_and_saveexec_b64 s[2:3], vcc
	s_cbranch_execz .LBB0_43
; %bb.42:                               ;   in Loop: Header=BB0_35 Depth=1
	.loc	1 51 34 is_stmt 1               ; attention_aot.py:51:34 @[ attention_aot.py:258:12 ]
	v_mov_b32_e32 v23, s55
	v_add_co_u32_e64 v22, s[0:1], s54, v94
	v_addc_co_u32_e64 v23, s[0:1], v93, v23, s[0:1]
	.loc	1 54 22                         ; attention_aot.py:54:22 @[ attention_aot.py:258:12 ]
	global_load_ushort v22, v[22:23], off
.LBB0_43:                               ;   in Loop: Header=BB0_35 Depth=1
	.loc	1 0 22 is_stmt 0                ; attention_aot.py:0:22
	s_or_b64 exec, exec, s[2:3]
	.loc	1 54 22                         ; attention_aot.py:54:22 @[ attention_aot.py:258:12 ]
	s_and_saveexec_b64 s[2:3], vcc
	s_cbranch_execz .LBB0_45
; %bb.44:                               ;   in Loop: Header=BB0_35 Depth=1
	.loc	1 51 34 is_stmt 1               ; attention_aot.py:51:34 @[ attention_aot.py:258:12 ]
	v_mov_b32_e32 v21, s55
	v_add_co_u32_e64 v24, s[0:1], s54, v92
	v_addc_co_u32_e64 v25, s[0:1], v91, v21, s[0:1]
	.loc	1 54 22                         ; attention_aot.py:54:22 @[ attention_aot.py:258:12 ]
	global_load_ushort v21, v[24:25], off
.LBB0_45:                               ;   in Loop: Header=BB0_35 Depth=1
	;; [unrolled: 28-line block ×3, first 2 shown]
	.loc	1 0 22 is_stmt 0                ; attention_aot.py:0:22
	s_or_b64 exec, exec, s[2:3]
	v_mov_b32_e32 v161, 0
	v_mov_b32_e32 v25, 0
	.loc	1 54 22                         ; attention_aot.py:54:22 @[ attention_aot.py:258:12 ]
	s_and_saveexec_b64 s[0:1], vcc
	s_cbranch_execz .LBB0_51
; %bb.50:                               ;   in Loop: Header=BB0_35 Depth=1
	.loc	1 51 34 is_stmt 1               ; attention_aot.py:51:34 @[ attention_aot.py:258:12 ]
	v_mov_b32_e32 v25, s55
	v_add_co_u32_e32 v26, vcc, s54, v86
	v_addc_co_u32_e32 v27, vcc, v85, v25, vcc
	.loc	1 54 22                         ; attention_aot.py:54:22 @[ attention_aot.py:258:12 ]
	global_load_ushort v25, v[26:27], off
.LBB0_51:                               ;   in Loop: Header=BB0_35 Depth=1
	.loc	1 0 22 is_stmt 0                ; attention_aot.py:0:22
	s_or_b64 exec, exec, s[0:1]
	.loc	1 51 34 is_stmt 1               ; attention_aot.py:51:34 @[ attention_aot.py:258:12 ]
	v_add_u32_e32 v26, s47, v122
	.loc	1 51 44 is_stmt 0               ; attention_aot.py:51:44 @[ attention_aot.py:258:12 ]
	v_cmp_gt_i32_e32 vcc, s61, v26
	.loc	1 56 28 is_stmt 1               ; attention_aot.py:56:28 @[ attention_aot.py:258:12 ]
	s_and_saveexec_b64 s[0:1], vcc
	s_cbranch_execz .LBB0_53
; %bb.52:                               ;   in Loop: Header=BB0_35 Depth=1
	.loc	1 51 34                         ; attention_aot.py:51:34 @[ attention_aot.py:258:12 ]
	v_mov_b32_e32 v27, s55
	v_add_co_u32_e32 v28, vcc, s54, v84
	v_addc_co_u32_e32 v29, vcc, v83, v27, vcc
	.loc	1 56 28                         ; attention_aot.py:56:28 @[ attention_aot.py:258:12 ]
	global_load_ushort v161, v[28:29], off
.LBB0_53:                               ;   in Loop: Header=BB0_35 Depth=1
	.loc	1 0 28 is_stmt 0                ; attention_aot.py:0:28
	s_or_b64 exec, exec, s[0:1]
	.loc	1 51 34 is_stmt 1               ; attention_aot.py:51:34 @[ attention_aot.py:258:12 ]
	v_add_u32_e32 v27, 8, v26
	.loc	1 51 44 is_stmt 0               ; attention_aot.py:51:44 @[ attention_aot.py:258:12 ]
	v_cmp_gt_i32_e32 vcc, s61, v27
	v_mov_b32_e32 v163, 0
	v_mov_b32_e32 v160, 0
	.loc	1 56 28 is_stmt 1               ; attention_aot.py:56:28 @[ attention_aot.py:258:12 ]
	s_and_saveexec_b64 s[0:1], vcc
	s_cbranch_execz .LBB0_55
; %bb.54:                               ;   in Loop: Header=BB0_35 Depth=1
	.loc	1 51 34                         ; attention_aot.py:51:34 @[ attention_aot.py:258:12 ]
	v_mov_b32_e32 v27, s55
	v_add_co_u32_e32 v28, vcc, s54, v82
	v_addc_co_u32_e32 v29, vcc, v81, v27, vcc
	.loc	1 56 28                         ; attention_aot.py:56:28 @[ attention_aot.py:258:12 ]
	global_load_ushort v160, v[28:29], off
.LBB0_55:                               ;   in Loop: Header=BB0_35 Depth=1
	.loc	1 0 28 is_stmt 0                ; attention_aot.py:0:28
	s_or_b64 exec, exec, s[0:1]
	.loc	1 51 34 is_stmt 1               ; attention_aot.py:51:34 @[ attention_aot.py:258:12 ]
	v_add_u32_e32 v27, 16, v26
	.loc	1 51 44 is_stmt 0               ; attention_aot.py:51:44 @[ attention_aot.py:258:12 ]
	v_cmp_gt_i32_e32 vcc, s61, v27
	.loc	1 56 28 is_stmt 1               ; attention_aot.py:56:28 @[ attention_aot.py:258:12 ]
	s_and_saveexec_b64 s[0:1], vcc
	s_cbranch_execz .LBB0_57
; %bb.56:                               ;   in Loop: Header=BB0_35 Depth=1
	.loc	1 51 34                         ; attention_aot.py:51:34 @[ attention_aot.py:258:12 ]
	v_mov_b32_e32 v27, s55
	v_add_co_u32_e32 v28, vcc, s54, v80
	v_addc_co_u32_e32 v29, vcc, v79, v27, vcc
	.loc	1 56 28                         ; attention_aot.py:56:28 @[ attention_aot.py:258:12 ]
	global_load_ushort v163, v[28:29], off
.LBB0_57:                               ;   in Loop: Header=BB0_35 Depth=1
	.loc	1 0 28 is_stmt 0                ; attention_aot.py:0:28
	s_or_b64 exec, exec, s[0:1]
	.loc	1 51 34 is_stmt 1               ; attention_aot.py:51:34 @[ attention_aot.py:258:12 ]
	v_add_u32_e32 v27, 24, v26
	.loc	1 51 44 is_stmt 0               ; attention_aot.py:51:44 @[ attention_aot.py:258:12 ]
	v_cmp_gt_i32_e32 vcc, s61, v27
	v_mov_b32_e32 v164, 0
	v_mov_b32_e32 v162, 0
	.loc	1 56 28 is_stmt 1               ; attention_aot.py:56:28 @[ attention_aot.py:258:12 ]
	s_and_saveexec_b64 s[0:1], vcc
	s_cbranch_execz .LBB0_59
; %bb.58:                               ;   in Loop: Header=BB0_35 Depth=1
	.loc	1 51 34                         ; attention_aot.py:51:34 @[ attention_aot.py:258:12 ]
	v_mov_b32_e32 v27, s55
	v_add_co_u32_e32 v28, vcc, s54, v78
	v_addc_co_u32_e32 v29, vcc, v77, v27, vcc
	.loc	1 56 28                         ; attention_aot.py:56:28 @[ attention_aot.py:258:12 ]
	global_load_ushort v162, v[28:29], off
.LBB0_59:                               ;   in Loop: Header=BB0_35 Depth=1
	;; [unrolled: 36-line block ×3, first 2 shown]
	.loc	1 0 28 is_stmt 0                ; attention_aot.py:0:28
	s_or_b64 exec, exec, s[0:1]
	.loc	1 51 34 is_stmt 1               ; attention_aot.py:51:34 @[ attention_aot.py:258:12 ]
	v_add_u32_e32 v27, 48, v26
	.loc	1 51 44 is_stmt 0               ; attention_aot.py:51:44 @[ attention_aot.py:258:12 ]
	v_cmp_gt_i32_e32 vcc, s61, v27
	.loc	1 56 28 is_stmt 1               ; attention_aot.py:56:28 @[ attention_aot.py:258:12 ]
	s_and_saveexec_b64 s[0:1], vcc
	s_cbranch_execz .LBB0_65
; %bb.64:                               ;   in Loop: Header=BB0_35 Depth=1
	.loc	1 51 34                         ; attention_aot.py:51:34 @[ attention_aot.py:258:12 ]
	v_mov_b32_e32 v27, s55
	v_add_co_u32_e32 v28, vcc, s54, v72
	v_addc_co_u32_e32 v29, vcc, v71, v27, vcc
	.loc	1 56 28                         ; attention_aot.py:56:28 @[ attention_aot.py:258:12 ]
	global_load_ushort v166, v[28:29], off
.LBB0_65:                               ;   in Loop: Header=BB0_35 Depth=1
	.loc	1 0 28 is_stmt 0                ; attention_aot.py:0:28
	s_or_b64 exec, exec, s[0:1]
	.loc	1 51 44 is_stmt 1               ; attention_aot.py:51:44 @[ attention_aot.py:258:12 ]
	v_add_u32_e32 v26, 56, v26
	v_cmp_gt_i32_e32 vcc, s61, v26
	v_mov_b32_e32 v167, 0
	.loc	1 56 28                         ; attention_aot.py:56:28 @[ attention_aot.py:258:12 ]
	s_and_saveexec_b64 s[0:1], vcc
	s_cbranch_execz .LBB0_34
; %bb.66:                               ;   in Loop: Header=BB0_35 Depth=1
	.loc	1 51 34                         ; attention_aot.py:51:34 @[ attention_aot.py:258:12 ]
	v_mov_b32_e32 v27, s55
	v_add_co_u32_e32 v26, vcc, s54, v70
	v_addc_co_u32_e32 v27, vcc, v1, v27, vcc
	.loc	1 56 28                         ; attention_aot.py:56:28 @[ attention_aot.py:258:12 ]
	global_load_ushort v167, v[26:27], off
	s_branch .LBB0_34
.Ltmp49:
.LBB0_67:
	.loc	1 0 28 is_stmt 0                ; attention_aot.py:0:28
	v_mov_b32_e32 v3, 0
	v_mov_b32_e32 v2, v3
	;; [unrolled: 1-line block ×16, first 2 shown]
.LBB0_68:                               ; %Flow937
	s_load_dwordx4 s[36:39], s[4:5], 0x78
.Ltmp50:
	.loc	1 50 33 is_stmt 1               ; attention_aot.py:50:33 @[ attention_aot.py:287:12 ]
	s_cmp_lg_u32 s15, 0x7fffff80
	s_cbranch_scc0 .LBB0_136
.Ltmp51:
; %bb.69:                               ; %.lr.ph167
	.loc	1 190 10                        ; attention_aot.py:190:10
	s_lshl_b64 s[2:3], s[52:53], 1
	s_add_u32 s0, s8, s2
	s_addc_u32 s1, s9, s3
	.loc	1 191 10                        ; attention_aot.py:191:10
	v_mov_b32_e32 v1, s1
	v_add_co_u32_e32 v18, vcc, s0, v66
	v_addc_co_u32_e32 v1, vcc, v1, v67, vcc
.Ltmp52:
	.loc	1 42 24                         ; attention_aot.py:42:24 @[ attention_aot.py:287:12 ]
	s_mul_i32 s0, s46, s15
.Ltmp53:
	.loc	1 192 10                        ; attention_aot.py:192:10
	v_add_co_u32_e32 v19, vcc, v18, v68
.Ltmp54:
	.loc	1 42 19                         ; attention_aot.py:42:19 @[ attention_aot.py:287:12 ]
	s_ashr_i32 s1, s0, 31
.Ltmp55:
	.loc	1 192 10                        ; attention_aot.py:192:10
	v_addc_co_u32_e32 v20, vcc, v1, v69, vcc
.Ltmp56:
	.loc	1 42 19                         ; attention_aot.py:42:19 @[ attention_aot.py:287:12 ]
	s_lshl_b64 s[4:5], s[0:1], 1
	v_mov_b32_e32 v21, s5
	v_add_co_u32_e32 v66, vcc, s4, v19
	v_addc_co_u32_e32 v67, vcc, v20, v21, vcc
	.loc	1 51 34                         ; attention_aot.py:51:34 @[ attention_aot.py:287:12 ]
	v_or_b32_e32 v19, s15, v130
	.loc	1 51 44 is_stmt 0               ; attention_aot.py:51:44 @[ attention_aot.py:287:12 ]
	s_waitcnt lgkmcnt(0)
	v_cmp_gt_i32_e32 vcc, s61, v19
	v_mov_b32_e32 v19, 0
	v_mov_b32_e32 v20, 0
	.loc	1 54 22 is_stmt 1               ; attention_aot.py:54:22 @[ attention_aot.py:287:12 ]
	s_and_saveexec_b64 s[0:1], vcc
	s_cbranch_execz .LBB0_71
; %bb.70:
	global_load_ushort v20, v[66:67], off
.Ltmp57:
.LBB0_71:
	.loc	1 0 22 is_stmt 0                ; attention_aot.py:0:22
	s_or_b64 exec, exec, s[0:1]
	.loc	1 192 10 is_stmt 1              ; attention_aot.py:192:10
	v_add_co_u32_e64 v21, s[0:1], v18, v64
	v_addc_co_u32_e64 v22, s[0:1], v1, v65, s[0:1]
.Ltmp58:
	.loc	1 42 19                         ; attention_aot.py:42:19 @[ attention_aot.py:287:12 ]
	v_mov_b32_e32 v23, s5
	v_add_co_u32_e64 v64, s[0:1], s4, v21
	v_addc_co_u32_e64 v65, s[0:1], v22, v23, s[0:1]
	.loc	1 54 22                         ; attention_aot.py:54:22 @[ attention_aot.py:287:12 ]
	s_and_saveexec_b64 s[0:1], vcc
	s_cbranch_execz .LBB0_73
; %bb.72:
	global_load_ushort v19, v[64:65], off
.Ltmp59:
.LBB0_73:
	.loc	1 0 22 is_stmt 0                ; attention_aot.py:0:22
	s_or_b64 exec, exec, s[0:1]
	.loc	1 192 10 is_stmt 1              ; attention_aot.py:192:10
	v_add_co_u32_e64 v21, s[0:1], v18, v62
	v_addc_co_u32_e64 v22, s[0:1], v1, v63, s[0:1]
.Ltmp60:
	.loc	1 42 19                         ; attention_aot.py:42:19 @[ attention_aot.py:287:12 ]
	v_mov_b32_e32 v23, s5
	v_add_co_u32_e64 v62, s[0:1], s4, v21
	v_addc_co_u32_e64 v63, s[0:1], v22, v23, s[0:1]
	v_mov_b32_e32 v21, 0
	v_mov_b32_e32 v22, 0
	.loc	1 54 22                         ; attention_aot.py:54:22 @[ attention_aot.py:287:12 ]
	s_and_saveexec_b64 s[0:1], vcc
	s_cbranch_execz .LBB0_75
; %bb.74:
	global_load_ushort v22, v[62:63], off
.Ltmp61:
.LBB0_75:
	.loc	1 0 22 is_stmt 0                ; attention_aot.py:0:22
	s_or_b64 exec, exec, s[0:1]
	.loc	1 192 10 is_stmt 1              ; attention_aot.py:192:10
	v_add_co_u32_e64 v23, s[0:1], v18, v60
	v_addc_co_u32_e64 v24, s[0:1], v1, v61, s[0:1]
.Ltmp62:
	.loc	1 42 19                         ; attention_aot.py:42:19 @[ attention_aot.py:287:12 ]
	v_mov_b32_e32 v25, s5
	v_add_co_u32_e64 v60, s[0:1], s4, v23
	v_addc_co_u32_e64 v61, s[0:1], v24, v25, s[0:1]
	.loc	1 54 22                         ; attention_aot.py:54:22 @[ attention_aot.py:287:12 ]
	s_and_saveexec_b64 s[0:1], vcc
	s_cbranch_execz .LBB0_77
; %bb.76:
	global_load_ushort v21, v[60:61], off
.Ltmp63:
.LBB0_77:
	.loc	1 0 22 is_stmt 0                ; attention_aot.py:0:22
	s_or_b64 exec, exec, s[0:1]
	.loc	1 192 10 is_stmt 1              ; attention_aot.py:192:10
	v_add_co_u32_e64 v23, s[0:1], v18, v58
	v_addc_co_u32_e64 v24, s[0:1], v1, v59, s[0:1]
.Ltmp64:
	.loc	1 42 19                         ; attention_aot.py:42:19 @[ attention_aot.py:287:12 ]
	v_mov_b32_e32 v25, s5
	v_add_co_u32_e64 v58, s[0:1], s4, v23
	v_addc_co_u32_e64 v59, s[0:1], v24, v25, s[0:1]
	v_mov_b32_e32 v23, 0
	v_mov_b32_e32 v24, 0
	.loc	1 54 22                         ; attention_aot.py:54:22 @[ attention_aot.py:287:12 ]
	s_and_saveexec_b64 s[0:1], vcc
	s_cbranch_execz .LBB0_79
; %bb.78:
	global_load_ushort v24, v[58:59], off
.Ltmp65:
.LBB0_79:
	.loc	1 0 22 is_stmt 0                ; attention_aot.py:0:22
	s_or_b64 exec, exec, s[0:1]
	.loc	1 192 10 is_stmt 1              ; attention_aot.py:192:10
	v_add_co_u32_e64 v25, s[0:1], v18, v56
	v_addc_co_u32_e64 v26, s[0:1], v1, v57, s[0:1]
.Ltmp66:
	.loc	1 42 19                         ; attention_aot.py:42:19 @[ attention_aot.py:287:12 ]
	v_mov_b32_e32 v27, s5
	v_add_co_u32_e64 v56, s[0:1], s4, v25
	v_addc_co_u32_e64 v57, s[0:1], v26, v27, s[0:1]
	.loc	1 54 22                         ; attention_aot.py:54:22 @[ attention_aot.py:287:12 ]
	s_and_saveexec_b64 s[0:1], vcc
	s_cbranch_execz .LBB0_81
; %bb.80:
	global_load_ushort v23, v[56:57], off
.Ltmp67:
.LBB0_81:
	.loc	1 0 22 is_stmt 0                ; attention_aot.py:0:22
	s_or_b64 exec, exec, s[0:1]
	.loc	1 192 10 is_stmt 1              ; attention_aot.py:192:10
	v_add_co_u32_e64 v25, s[0:1], v18, v54
	v_addc_co_u32_e64 v26, s[0:1], v1, v55, s[0:1]
.Ltmp68:
	.loc	1 42 19                         ; attention_aot.py:42:19 @[ attention_aot.py:287:12 ]
	v_mov_b32_e32 v27, s5
	v_add_co_u32_e64 v54, s[0:1], s4, v25
	v_addc_co_u32_e64 v55, s[0:1], v26, v27, s[0:1]
	v_mov_b32_e32 v25, 0
	v_mov_b32_e32 v26, 0
	.loc	1 54 22                         ; attention_aot.py:54:22 @[ attention_aot.py:287:12 ]
	s_and_saveexec_b64 s[0:1], vcc
	s_cbranch_execz .LBB0_83
; %bb.82:
	global_load_ushort v26, v[54:55], off
.Ltmp69:
.LBB0_83:
	.loc	1 0 22 is_stmt 0                ; attention_aot.py:0:22
	s_or_b64 exec, exec, s[0:1]
	.loc	1 192 10 is_stmt 1              ; attention_aot.py:192:10
	v_add_co_u32_e64 v18, s[0:1], v18, v52
	v_addc_co_u32_e64 v1, s[0:1], v1, v53, s[0:1]
.Ltmp70:
	.loc	1 42 19                         ; attention_aot.py:42:19 @[ attention_aot.py:287:12 ]
	v_mov_b32_e32 v27, s5
	v_add_co_u32_e64 v52, s[0:1], s4, v18
	v_addc_co_u32_e64 v53, s[0:1], v1, v27, s[0:1]
	.loc	1 54 22                         ; attention_aot.py:54:22 @[ attention_aot.py:287:12 ]
	s_and_saveexec_b64 s[0:1], vcc
	s_cbranch_execz .LBB0_85
; %bb.84:
	global_load_ushort v25, v[52:53], off
.Ltmp71:
.LBB0_85:
	.loc	1 0 22 is_stmt 0                ; attention_aot.py:0:22
	s_or_b64 exec, exec, s[0:1]
	.loc	1 196 10 is_stmt 1              ; attention_aot.py:196:10
	s_add_u32 s4, s10, s2
	s_addc_u32 s5, s11, s3
	.loc	1 197 10                        ; attention_aot.py:197:10
	v_mov_b32_e32 v1, s5
	v_add_co_u32_e32 v18, vcc, s4, v50
	v_addc_co_u32_e32 v1, vcc, v1, v51, vcc
.Ltmp72:
	.loc	1 43 24                         ; attention_aot.py:43:24 @[ attention_aot.py:287:12 ]
	s_mul_i32 s0, s50, s15
.Ltmp73:
	.loc	1 198 10                        ; attention_aot.py:198:10
	v_add_co_u32_e32 v18, vcc, v18, v34
.Ltmp74:
	.loc	1 43 19                         ; attention_aot.py:43:19 @[ attention_aot.py:287:12 ]
	s_ashr_i32 s1, s0, 31
.Ltmp75:
	.loc	1 198 10                        ; attention_aot.py:198:10
	v_addc_co_u32_e32 v1, vcc, v1, v35, vcc
.Ltmp76:
	.loc	1 43 19                         ; attention_aot.py:43:19 @[ attention_aot.py:287:12 ]
	s_lshl_b64 s[0:1], s[0:1], 1
	v_mov_b32_e32 v27, s1
	v_add_co_u32_e32 v50, vcc, s0, v18
	v_addc_co_u32_e32 v51, vcc, v1, v27, vcc
	.loc	1 51 44                         ; attention_aot.py:51:44 @[ attention_aot.py:287:12 ]
	v_cmp_gt_i32_e32 vcc, s61, v135
	v_mov_b32_e32 v87, 0
	v_mov_b32_e32 v88, 0
	.loc	1 56 28                         ; attention_aot.py:56:28 @[ attention_aot.py:287:12 ]
	s_and_saveexec_b64 s[2:3], vcc
	s_cbranch_execz .LBB0_87
; %bb.86:
	global_load_ushort v88, v[50:51], off
.Ltmp77:
.LBB0_87:
	.loc	1 0 28 is_stmt 0                ; attention_aot.py:0:28
	s_or_b64 exec, exec, s[2:3]
	.loc	1 197 10 is_stmt 1              ; attention_aot.py:197:10
	v_mov_b32_e32 v1, s5
	v_add_co_u32_e32 v18, vcc, s4, v48
	v_addc_co_u32_e32 v1, vcc, v1, v49, vcc
	.loc	1 198 10                        ; attention_aot.py:198:10
	v_add_co_u32_e32 v18, vcc, v18, v34
	v_addc_co_u32_e32 v1, vcc, v1, v35, vcc
.Ltmp78:
	.loc	1 43 19                         ; attention_aot.py:43:19 @[ attention_aot.py:287:12 ]
	v_mov_b32_e32 v27, s1
	v_add_co_u32_e32 v48, vcc, s0, v18
	v_addc_co_u32_e32 v49, vcc, v1, v27, vcc
	.loc	1 51 44                         ; attention_aot.py:51:44 @[ attention_aot.py:287:12 ]
	v_cmp_gt_i32_e32 vcc, s61, v136
	.loc	1 56 28                         ; attention_aot.py:56:28 @[ attention_aot.py:287:12 ]
	s_and_saveexec_b64 s[2:3], vcc
	s_cbranch_execz .LBB0_89
; %bb.88:
	global_load_ushort v87, v[48:49], off
.Ltmp79:
.LBB0_89:
	.loc	1 0 28 is_stmt 0                ; attention_aot.py:0:28
	s_or_b64 exec, exec, s[2:3]
	.loc	1 197 10 is_stmt 1              ; attention_aot.py:197:10
	v_mov_b32_e32 v1, s5
	v_add_co_u32_e32 v18, vcc, s4, v46
	v_addc_co_u32_e32 v1, vcc, v1, v47, vcc
	.loc	1 198 10                        ; attention_aot.py:198:10
	v_add_co_u32_e32 v18, vcc, v18, v34
	v_addc_co_u32_e32 v1, vcc, v1, v35, vcc
.Ltmp80:
	.loc	1 43 19                         ; attention_aot.py:43:19 @[ attention_aot.py:287:12 ]
	v_mov_b32_e32 v27, s1
	v_add_co_u32_e32 v68, vcc, s0, v18
	v_addc_co_u32_e32 v69, vcc, v1, v27, vcc
	.loc	1 51 44                         ; attention_aot.py:51:44 @[ attention_aot.py:287:12 ]
	v_cmp_gt_i32_e32 vcc, s61, v137
	v_mov_b32_e32 v145, 0
	v_mov_b32_e32 v146, 0
	.loc	1 56 28                         ; attention_aot.py:56:28 @[ attention_aot.py:287:12 ]
	s_and_saveexec_b64 s[2:3], vcc
	s_cbranch_execz .LBB0_91
; %bb.90:
	global_load_ushort v146, v[68:69], off
.Ltmp81:
.LBB0_91:
	.loc	1 0 28 is_stmt 0                ; attention_aot.py:0:28
	s_or_b64 exec, exec, s[2:3]
	.loc	1 197 10 is_stmt 1              ; attention_aot.py:197:10
	v_mov_b32_e32 v1, s5
	v_add_co_u32_e32 v18, vcc, s4, v44
	v_addc_co_u32_e32 v1, vcc, v1, v45, vcc
	.loc	1 198 10                        ; attention_aot.py:198:10
	v_add_co_u32_e32 v18, vcc, v18, v34
	v_addc_co_u32_e32 v1, vcc, v1, v35, vcc
.Ltmp82:
	.loc	1 43 19                         ; attention_aot.py:43:19 @[ attention_aot.py:287:12 ]
	v_mov_b32_e32 v27, s1
	v_add_co_u32_e32 v70, vcc, s0, v18
	v_addc_co_u32_e32 v71, vcc, v1, v27, vcc
	.loc	1 51 44                         ; attention_aot.py:51:44 @[ attention_aot.py:287:12 ]
	v_cmp_gt_i32_e32 vcc, s61, v138
	.loc	1 56 28                         ; attention_aot.py:56:28 @[ attention_aot.py:287:12 ]
	s_and_saveexec_b64 s[2:3], vcc
	s_cbranch_execz .LBB0_93
; %bb.92:
	global_load_ushort v145, v[70:71], off
.Ltmp83:
.LBB0_93:
	.loc	1 0 28 is_stmt 0                ; attention_aot.py:0:28
	s_or_b64 exec, exec, s[2:3]
	.loc	1 197 10 is_stmt 1              ; attention_aot.py:197:10
	v_mov_b32_e32 v1, s5
	v_add_co_u32_e32 v18, vcc, s4, v42
	v_addc_co_u32_e32 v1, vcc, v1, v43, vcc
	.loc	1 198 10                        ; attention_aot.py:198:10
	v_add_co_u32_e32 v18, vcc, v18, v34
	v_addc_co_u32_e32 v1, vcc, v1, v35, vcc
.Ltmp84:
	.loc	1 43 19                         ; attention_aot.py:43:19 @[ attention_aot.py:287:12 ]
	v_mov_b32_e32 v27, s1
	v_add_co_u32_e32 v72, vcc, s0, v18
	v_addc_co_u32_e32 v73, vcc, v1, v27, vcc
	.loc	1 51 44                         ; attention_aot.py:51:44 @[ attention_aot.py:287:12 ]
	v_cmp_gt_i32_e32 vcc, s61, v139
	v_mov_b32_e32 v147, 0
	v_mov_b32_e32 v148, 0
	.loc	1 56 28                         ; attention_aot.py:56:28 @[ attention_aot.py:287:12 ]
	s_and_saveexec_b64 s[2:3], vcc
	s_cbranch_execz .LBB0_95
; %bb.94:
	global_load_ushort v148, v[72:73], off
.Ltmp85:
.LBB0_95:
	.loc	1 0 28 is_stmt 0                ; attention_aot.py:0:28
	s_or_b64 exec, exec, s[2:3]
	.loc	1 197 10 is_stmt 1              ; attention_aot.py:197:10
	v_mov_b32_e32 v1, s5
	v_add_co_u32_e32 v18, vcc, s4, v40
	v_addc_co_u32_e32 v1, vcc, v1, v41, vcc
	.loc	1 198 10                        ; attention_aot.py:198:10
	v_add_co_u32_e32 v18, vcc, v18, v34
	v_addc_co_u32_e32 v1, vcc, v1, v35, vcc
.Ltmp86:
	.loc	1 43 19                         ; attention_aot.py:43:19 @[ attention_aot.py:287:12 ]
	v_mov_b32_e32 v27, s1
	v_add_co_u32_e32 v74, vcc, s0, v18
	v_addc_co_u32_e32 v75, vcc, v1, v27, vcc
	.loc	1 51 44                         ; attention_aot.py:51:44 @[ attention_aot.py:287:12 ]
	v_cmp_gt_i32_e32 vcc, s61, v140
	.loc	1 56 28                         ; attention_aot.py:56:28 @[ attention_aot.py:287:12 ]
	s_and_saveexec_b64 s[2:3], vcc
	s_cbranch_execz .LBB0_97
; %bb.96:
	global_load_ushort v147, v[74:75], off
.Ltmp87:
.LBB0_97:
	.loc	1 0 28 is_stmt 0                ; attention_aot.py:0:28
	s_or_b64 exec, exec, s[2:3]
	.loc	1 197 10 is_stmt 1              ; attention_aot.py:197:10
	v_mov_b32_e32 v1, s5
	v_add_co_u32_e32 v18, vcc, s4, v38
	v_addc_co_u32_e32 v1, vcc, v1, v39, vcc
	.loc	1 198 10                        ; attention_aot.py:198:10
	v_add_co_u32_e32 v18, vcc, v18, v34
	v_addc_co_u32_e32 v1, vcc, v1, v35, vcc
.Ltmp88:
	.loc	1 43 19                         ; attention_aot.py:43:19 @[ attention_aot.py:287:12 ]
	v_mov_b32_e32 v27, s1
	v_add_co_u32_e32 v76, vcc, s0, v18
	v_addc_co_u32_e32 v77, vcc, v1, v27, vcc
	.loc	1 51 44                         ; attention_aot.py:51:44 @[ attention_aot.py:287:12 ]
	v_cmp_gt_i32_e32 vcc, s61, v141
	v_mov_b32_e32 v149, 0
	v_mov_b32_e32 v150, 0
	.loc	1 56 28                         ; attention_aot.py:56:28 @[ attention_aot.py:287:12 ]
	s_and_saveexec_b64 s[2:3], vcc
	s_cbranch_execz .LBB0_99
; %bb.98:
	global_load_ushort v150, v[76:77], off
.Ltmp89:
.LBB0_99:
	.loc	1 0 28 is_stmt 0                ; attention_aot.py:0:28
	s_or_b64 exec, exec, s[2:3]
	.loc	1 197 10 is_stmt 1              ; attention_aot.py:197:10
	v_mov_b32_e32 v1, s5
	v_add_co_u32_e32 v18, vcc, s4, v36
	v_addc_co_u32_e32 v1, vcc, v1, v37, vcc
	.loc	1 198 10                        ; attention_aot.py:198:10
	v_add_co_u32_e32 v18, vcc, v18, v34
	v_addc_co_u32_e32 v1, vcc, v1, v35, vcc
.Ltmp90:
	.loc	1 43 19                         ; attention_aot.py:43:19 @[ attention_aot.py:287:12 ]
	v_mov_b32_e32 v27, s1
	v_add_co_u32_e32 v78, vcc, s0, v18
	v_addc_co_u32_e32 v79, vcc, v1, v27, vcc
	.loc	1 51 44                         ; attention_aot.py:51:44 @[ attention_aot.py:287:12 ]
	v_cmp_gt_i32_e32 vcc, s61, v142
	.loc	1 56 28                         ; attention_aot.py:56:28 @[ attention_aot.py:287:12 ]
	s_and_saveexec_b64 s[0:1], vcc
	s_cbranch_execz .LBB0_101
; %bb.100:
	global_load_ushort v149, v[78:79], off
.Ltmp91:
.LBB0_101:
	.loc	1 0 28 is_stmt 0                ; attention_aot.py:0:28
	s_or_b64 exec, exec, s[0:1]
	v_or_b32_e32 v18, 0x400, v143
	v_or_b32_e32 v27, 0xc00, v143
	;; [unrolled: 1-line block ×4, first 2 shown]
	v_add_u32_e32 v86, 0, v134
	v_add_u32_e32 v89, v86, v132
	.loc	1 178 46 is_stmt 1              ; attention_aot.py:178:46
	v_lshrrev_b32_e32 v30, 1, v131
.Ltmp92:
	.loc	1 54 22                         ; attention_aot.py:54:22 @[ attention_aot.py:287:12 ]
	v_add_u32_e32 v80, 0, v143
	v_add_u32_e32 v81, 0, v18
	;; [unrolled: 1-line block ×5, first 2 shown]
	.loc	1 58 27                         ; attention_aot.py:58:27 @[ attention_aot.py:287:12 ]
	s_mov_b32 s34, 0x5040100
.Ltmp93:
	.loc	1 178 33                        ; attention_aot.py:178:33
	v_or_b32_e32 v141, v119, v30
.Ltmp94:
	.loc	1 54 22                         ; attention_aot.py:54:22 @[ attention_aot.py:287:12 ]
	s_waitcnt lgkmcnt(0)
	s_barrier
	s_waitcnt vmcnt(0)
	ds_write_b16 v80, v20
	ds_write_b16 v81, v19
	ds_write_b16 v80, v22 offset:2048
	ds_write_b16 v82, v21
	ds_write_b16 v80, v24 offset:4096
	;; [unrolled: 2-line block ×3, first 2 shown]
	ds_write_b16 v84, v25
	s_waitcnt lgkmcnt(0)
	s_barrier
	ds_read_u16 v18, v89
	ds_read_u16 v19, v89 offset:128
	ds_read_u16 v20, v89 offset:256
	;; [unrolled: 1-line block ×63, first 2 shown]
	.loc	1 58 27                         ; attention_aot.py:58:27 @[ attention_aot.py:287:12 ]
	s_waitcnt lgkmcnt(14)
	v_perm_b32 v35, v21, v20, s34
	v_perm_b32 v34, v19, v18, s34
	v_perm_b32 v37, v29, v28, s34
	v_perm_b32 v36, v27, v26, s34
	v_perm_b32 v39, v41, v39, s34
	v_perm_b32 v41, v45, v44, s34
	v_perm_b32 v45, v155, v154, s34
	v_perm_b32 v44, v153, v152, s34
	v_perm_b32 v153, v22, v23, s34
	v_perm_b32 v152, v24, v25, s34
	v_perm_b32 v155, v30, v31, s34
	v_perm_b32 v154, v32, v33, s34
	v_mfma_f32_32x32x8f16 v[18:33], v[34:35], v[184:185], 0
	v_perm_b32 v38, v40, v38, s34
	v_perm_b32 v40, v43, v42, s34
	;; [unrolled: 1-line block ×4, first 2 shown]
	s_waitcnt lgkmcnt(12)
	v_perm_b32 v47, v220, v219, s34
	v_perm_b32 v46, v218, v217, s34
	s_waitcnt lgkmcnt(4)
	v_perm_b32 v143, v228, v227, s34
	v_perm_b32 v142, v226, v225, s34
.Ltmp95:
	.loc	1 175 33                        ; attention_aot.py:175:33
	v_or_b32_e32 v106, 26, v101
	v_or_b32_e32 v107, 27, v101
.Ltmp96:
	.loc	1 51 34                         ; attention_aot.py:51:34 @[ attention_aot.py:287:12 ]
	v_or_b32_e32 v195, s15, v106
	v_or_b32_e32 v85, s15, v101
	;; [unrolled: 1-line block ×3, first 2 shown]
	.loc	1 58 27                         ; attention_aot.py:58:27 @[ attention_aot.py:287:12 ]
	v_perm_b32 v157, v156, v157, s34
	v_perm_b32 v156, v158, v159, s34
	v_mfma_f32_32x32x8f16 v[18:33], v[36:37], v[176:177], v[18:33]
	v_perm_b32 v158, v162, v163, s34
	v_perm_b32 v163, v213, v214, s34
	.loc	1 60 49                         ; attention_aot.py:60:49 @[ attention_aot.py:287:12 ]
	v_mov_b32_e32 v213, 0xff800000
	.loc	1 51 44                         ; attention_aot.py:51:44 @[ attention_aot.py:287:12 ]
	v_cmp_gt_i32_e64 s[30:31], s61, v195
	v_cmp_gt_i32_e32 vcc, s61, v85
	.loc	1 58 27                         ; attention_aot.py:58:27 @[ attention_aot.py:287:12 ]
	v_perm_b32 v159, v160, v161, s34
	v_perm_b32 v161, v164, v165, s34
	;; [unrolled: 1-line block ×6, first 2 shown]
	s_waitcnt lgkmcnt(2)
	v_perm_b32 v167, v229, v230, s34
	s_waitcnt lgkmcnt(0)
	v_perm_b32 v166, v231, v232, s34
.Ltmp97:
	.loc	1 175 33                        ; attention_aot.py:175:33
	v_or_b32_e32 v108, 32, v101
	v_or_b32_e32 v109, 33, v101
.Ltmp98:
	.loc	1 58 27                         ; attention_aot.py:58:27 @[ attention_aot.py:287:12 ]
	v_mfma_f32_32x32x8f16 v[18:33], v[38:39], v[174:175], v[18:33]
	.loc	1 51 34                         ; attention_aot.py:51:34 @[ attention_aot.py:287:12 ]
	v_or_b32_e32 v197, s15, v108
.Ltmp99:
	.loc	1 175 33                        ; attention_aot.py:175:33
	v_or_b32_e32 v110, 34, v101
.Ltmp100:
	.loc	1 51 34                         ; attention_aot.py:51:34 @[ attention_aot.py:287:12 ]
	v_or_b32_e32 v198, s15, v109
.Ltmp101:
	.loc	1 175 33                        ; attention_aot.py:175:33
	v_or_b32_e32 v111, 35, v101
.Ltmp102:
	.loc	1 51 34                         ; attention_aot.py:51:34 @[ attention_aot.py:287:12 ]
	v_or_b32_e32 v199, s15, v110
.Ltmp103:
	.loc	1 175 33                        ; attention_aot.py:175:33
	v_or_b32_e32 v112, 40, v101
.Ltmp104:
	.loc	1 51 34                         ; attention_aot.py:51:34 @[ attention_aot.py:287:12 ]
	v_or_b32_e32 v200, s15, v111
.Ltmp105:
	.loc	1 175 33                        ; attention_aot.py:175:33
	v_or_b32_e32 v113, 41, v101
.Ltmp106:
	.loc	1 51 34                         ; attention_aot.py:51:34 @[ attention_aot.py:287:12 ]
	v_or_b32_e32 v201, s15, v112
.Ltmp107:
	.loc	1 175 33                        ; attention_aot.py:175:33
	v_or_b32_e32 v114, 42, v101
.Ltmp108:
	.loc	1 51 34                         ; attention_aot.py:51:34 @[ attention_aot.py:287:12 ]
	v_or_b32_e32 v202, s15, v113
.Ltmp109:
	.loc	1 175 33                        ; attention_aot.py:175:33
	v_or_b32_e32 v115, 43, v101
.Ltmp110:
	.loc	1 51 34                         ; attention_aot.py:51:34 @[ attention_aot.py:287:12 ]
	v_or_b32_e32 v203, s15, v114
.Ltmp111:
	.loc	1 175 33                        ; attention_aot.py:175:33
	v_or_b32_e32 v116, 48, v101
.Ltmp112:
	.loc	1 51 34                         ; attention_aot.py:51:34 @[ attention_aot.py:287:12 ]
	v_or_b32_e32 v204, s15, v115
	.loc	1 58 27                         ; attention_aot.py:58:27 @[ attention_aot.py:287:12 ]
	v_mfma_f32_32x32x8f16 v[18:33], v[40:41], v[172:173], v[18:33]
.Ltmp113:
	.loc	1 175 33                        ; attention_aot.py:175:33
	v_or_b32_e32 v117, 49, v101
.Ltmp114:
	.loc	1 51 34                         ; attention_aot.py:51:34 @[ attention_aot.py:287:12 ]
	v_or_b32_e32 v205, s15, v116
.Ltmp115:
	.loc	1 175 33                        ; attention_aot.py:175:33
	v_or_b32_e32 v135, 50, v101
.Ltmp116:
	.loc	1 51 34                         ; attention_aot.py:51:34 @[ attention_aot.py:287:12 ]
	v_or_b32_e32 v206, s15, v117
.Ltmp117:
	.loc	1 175 33                        ; attention_aot.py:175:33
	v_or_b32_e32 v136, 51, v101
.Ltmp118:
	.loc	1 51 34                         ; attention_aot.py:51:34 @[ attention_aot.py:287:12 ]
	v_or_b32_e32 v207, s15, v135
.Ltmp119:
	.loc	1 175 33                        ; attention_aot.py:175:33
	v_or_b32_e32 v137, 56, v101
.Ltmp120:
	.loc	1 51 34                         ; attention_aot.py:51:34 @[ attention_aot.py:287:12 ]
	v_or_b32_e32 v208, s15, v136
.Ltmp121:
	.loc	1 175 33                        ; attention_aot.py:175:33
	v_or_b32_e32 v138, 57, v101
.Ltmp122:
	.loc	1 51 34                         ; attention_aot.py:51:34 @[ attention_aot.py:287:12 ]
	v_or_b32_e32 v209, s15, v137
.Ltmp123:
	.loc	1 175 33                        ; attention_aot.py:175:33
	v_or_b32_e32 v139, 58, v101
.Ltmp124:
	.loc	1 51 34                         ; attention_aot.py:51:34 @[ attention_aot.py:287:12 ]
	v_or_b32_e32 v210, s15, v138
.Ltmp125:
	.loc	1 175 33                        ; attention_aot.py:175:33
	v_or_b32_e32 v140, 59, v101
.Ltmp126:
	.loc	1 51 34                         ; attention_aot.py:51:34 @[ attention_aot.py:287:12 ]
	v_or_b32_e32 v211, s15, v139
	v_or_b32_e32 v212, s15, v140
	.loc	1 58 27                         ; attention_aot.py:58:27 @[ attention_aot.py:287:12 ]
	v_mfma_f32_32x32x8f16 v[18:33], v[42:43], v[182:183], v[18:33]
.Ltmp127:
	.loc	1 175 33                        ; attention_aot.py:175:33
	v_or_b32_e32 v90, 1, v101
	v_or_b32_e32 v91, 2, v101
	v_xor_b32_e32 v1, 0x80, v144
.Ltmp128:
	.loc	1 51 34                         ; attention_aot.py:51:34 @[ attention_aot.py:287:12 ]
	v_or_b32_e32 v144, s15, v90
	v_or_b32_e32 v151, s15, v91
	.loc	1 51 44 is_stmt 0               ; attention_aot.py:51:44 @[ attention_aot.py:287:12 ]
	v_cmp_gt_i32_e64 s[0:1], s61, v144
.Ltmp129:
	.loc	1 175 33 is_stmt 1              ; attention_aot.py:175:33
	v_or_b32_e32 v92, 3, v101
.Ltmp130:
	.loc	1 51 44                         ; attention_aot.py:51:44 @[ attention_aot.py:287:12 ]
	v_cmp_gt_i32_e64 s[2:3], s61, v151
.Ltmp131:
	.loc	1 175 33                        ; attention_aot.py:175:33
	v_or_b32_e32 v93, 8, v101
	v_or_b32_e32 v94, 9, v101
	;; [unrolled: 1-line block ×7, first 2 shown]
.Ltmp132:
	.loc	1 58 27                         ; attention_aot.py:58:27 @[ attention_aot.py:287:12 ]
	v_mfma_f32_32x32x8f16 v[18:33], v[44:45], v[180:181], v[18:33]
.Ltmp133:
	.loc	1 175 33                        ; attention_aot.py:175:33
	v_or_b32_e32 v100, 19, v101
	v_or_b32_e32 v104, 24, v101
	;; [unrolled: 1-line block ×3, first 2 shown]
.Ltmp134:
	.loc	1 51 34                         ; attention_aot.py:51:34 @[ attention_aot.py:287:12 ]
	v_or_b32_e32 v168, s15, v92
	v_or_b32_e32 v169, s15, v93
	;; [unrolled: 1-line block ×3, first 2 shown]
	.loc	1 51 44 is_stmt 0               ; attention_aot.py:51:44 @[ attention_aot.py:287:12 ]
	v_cmp_gt_i32_e64 s[4:5], s61, v168
	.loc	1 51 34                         ; attention_aot.py:51:34 @[ attention_aot.py:287:12 ]
	v_or_b32_e32 v187, s15, v95
	v_or_b32_e32 v188, s15, v96
	.loc	1 51 44                         ; attention_aot.py:51:44 @[ attention_aot.py:287:12 ]
	v_cmp_gt_i32_e64 s[6:7], s61, v169
	v_cmp_gt_i32_e64 s[8:9], s61, v186
	.loc	1 51 34                         ; attention_aot.py:51:34 @[ attention_aot.py:287:12 ]
	v_or_b32_e32 v189, s15, v97
	v_or_b32_e32 v190, s15, v98
	.loc	1 51 44                         ; attention_aot.py:51:44 @[ attention_aot.py:287:12 ]
	v_cmp_gt_i32_e64 s[10:11], s61, v187
	v_cmp_gt_i32_e64 s[12:13], s61, v188
	.loc	1 58 27 is_stmt 1               ; attention_aot.py:58:27 @[ attention_aot.py:287:12 ]
	v_mfma_f32_32x32x8f16 v[18:33], v[46:47], v[178:179], v[18:33]
	.loc	1 51 34                         ; attention_aot.py:51:34 @[ attention_aot.py:287:12 ]
	v_or_b32_e32 v191, s15, v99
	v_or_b32_e32 v192, s15, v100
	.loc	1 51 44 is_stmt 0               ; attention_aot.py:51:44 @[ attention_aot.py:287:12 ]
	v_cmp_gt_i32_e64 s[28:29], s61, v189
	v_cmp_gt_i32_e64 s[26:27], s61, v190
	.loc	1 51 34                         ; attention_aot.py:51:34 @[ attention_aot.py:287:12 ]
	v_or_b32_e32 v193, s15, v104
	v_or_b32_e32 v194, s15, v105
	.loc	1 51 44                         ; attention_aot.py:51:44 @[ attention_aot.py:287:12 ]
	v_cmp_gt_i32_e64 s[18:19], s61, v191
	v_cmp_gt_i32_e64 s[20:21], s61, v192
	;; [unrolled: 1-line block ×4, first 2 shown]
	.loc	1 95 20 is_stmt 1               ; attention_aot.py:95:20 @[ attention_aot.py:287:12 ]
	s_waitcnt lgkmcnt(0)
	s_barrier
	.loc	1 58 27                         ; attention_aot.py:58:27 @[ attention_aot.py:287:12 ]
	v_mfma_f32_32x32x8f16 v[18:33], v[142:143], v[170:171], v[18:33]
	.loc	1 78 63                         ; attention_aot.py:78:63 @[ attention_aot.py:287:12 ]
	v_mov_b32_e32 v143, 0xc9742400
	.loc	1 60 49                         ; attention_aot.py:60:49 @[ attention_aot.py:287:12 ]
	s_nop 15
	s_nop 1
	v_cndmask_b32_e64 v85, v213, v32, s[30:31]
	.loc	1 51 44                         ; attention_aot.py:51:44 @[ attention_aot.py:287:12 ]
	v_cmp_gt_i32_e64 s[30:31], s61, v196
	.loc	1 60 49                         ; attention_aot.py:60:49 @[ attention_aot.py:287:12 ]
	v_cndmask_b32_e64 v142, v213, v33, s[30:31]
	.loc	1 58 27                         ; attention_aot.py:58:27 @[ attention_aot.py:287:12 ]
	v_mfma_f32_32x32x8f16 v[32:47], v[152:153], v[184:185], 0
	.loc	1 60 49                         ; attention_aot.py:60:49 @[ attention_aot.py:287:12 ]
	v_cndmask_b32_e32 v18, v213, v18, vcc
	.loc	1 51 44                         ; attention_aot.py:51:44 @[ attention_aot.py:287:12 ]
	v_cmp_gt_i32_e32 vcc, s61, v197
	.loc	1 60 49                         ; attention_aot.py:60:49 @[ attention_aot.py:287:12 ]
	v_cndmask_b32_e64 v19, v213, v19, s[0:1]
	v_cndmask_b32_e64 v20, v213, v20, s[2:3]
	;; [unrolled: 1-line block ×3, first 2 shown]
	.loc	1 78 26                         ; attention_aot.py:78:26 @[ attention_aot.py:287:12 ]
	v_mul_f32_e32 v18, s14, v18
	v_mul_f32_e32 v19, s14, v19
	.loc	1 60 49                         ; attention_aot.py:60:49 @[ attention_aot.py:287:12 ]
	v_cndmask_b32_e64 v22, v213, v22, s[6:7]
	v_cndmask_b32_e64 v23, v213, v23, s[8:9]
	.loc	1 78 26                         ; attention_aot.py:78:26 @[ attention_aot.py:287:12 ]
	v_mul_f32_e32 v20, s14, v20
	v_mul_f32_e32 v21, s14, v21
	.loc	1 60 49                         ; attention_aot.py:60:49 @[ attention_aot.py:287:12 ]
	v_cndmask_b32_e64 v24, v213, v24, s[10:11]
	v_cndmask_b32_e64 v25, v213, v25, s[12:13]
	.loc	1 78 26                         ; attention_aot.py:78:26 @[ attention_aot.py:287:12 ]
	v_mul_f32_e32 v22, s14, v22
	v_mul_f32_e32 v23, s14, v23
	.loc	1 58 27                         ; attention_aot.py:58:27 @[ attention_aot.py:287:12 ]
	v_mfma_f32_32x32x8f16 v[32:47], v[154:155], v[176:177], v[32:47]
	.loc	1 60 49                         ; attention_aot.py:60:49 @[ attention_aot.py:287:12 ]
	v_cndmask_b32_e64 v26, v213, v26, s[28:29]
	v_cndmask_b32_e64 v27, v213, v27, s[26:27]
	.loc	1 78 26                         ; attention_aot.py:78:26 @[ attention_aot.py:287:12 ]
	v_mul_f32_e32 v24, s14, v24
	v_mul_f32_e32 v25, s14, v25
	.loc	1 60 49                         ; attention_aot.py:60:49 @[ attention_aot.py:287:12 ]
	v_cndmask_b32_e64 v28, v213, v28, s[18:19]
	v_cndmask_b32_e64 v29, v213, v29, s[20:21]
	.loc	1 78 26                         ; attention_aot.py:78:26 @[ attention_aot.py:287:12 ]
	v_mul_f32_e32 v26, s14, v26
	v_mul_f32_e32 v27, s14, v27
	;; [unrolled: 6-line block ×3, first 2 shown]
	v_mul_f32_e32 v30, s14, v30
	v_mul_f32_e32 v31, s14, v31
	v_mul_f32_e32 v85, s14, v85
	.loc	1 58 27                         ; attention_aot.py:58:27 @[ attention_aot.py:287:12 ]
	v_mfma_f32_32x32x8f16 v[32:47], v[156:157], v[174:175], v[32:47]
	.loc	1 78 26                         ; attention_aot.py:78:26 @[ attention_aot.py:287:12 ]
	v_mul_f32_e32 v142, s14, v142
	.loc	1 37 52                         ; attention_aot.py:37:52 @[ attention_aot.py:287:12 ]
	s_add_i32 s0, s15, 0x80
	.loc	1 50 33                         ; attention_aot.py:50:33 @[ attention_aot.py:287:12 ]
	s_or_b32 s4, s15, 64
	s_cmp_ge_i32 s4, s0
	.loc	1 58 27                         ; attention_aot.py:58:27 @[ attention_aot.py:287:12 ]
	v_mfma_f32_32x32x8f16 v[32:47], v[158:159], v[172:173], v[32:47]
	v_mfma_f32_32x32x8f16 v[32:47], v[160:161], v[182:183], v[32:47]
	;; [unrolled: 1-line block ×5, first 2 shown]
	.loc	1 60 49                         ; attention_aot.py:60:49 @[ attention_aot.py:287:12 ]
	s_nop 15
	s_nop 2
	v_cndmask_b32_e32 v32, v213, v32, vcc
	.loc	1 51 44                         ; attention_aot.py:51:44 @[ attention_aot.py:287:12 ]
	v_cmp_gt_i32_e32 vcc, s61, v198
	.loc	1 60 49                         ; attention_aot.py:60:49 @[ attention_aot.py:287:12 ]
	v_cndmask_b32_e32 v33, v213, v33, vcc
	.loc	1 51 44                         ; attention_aot.py:51:44 @[ attention_aot.py:287:12 ]
	v_cmp_gt_i32_e32 vcc, s61, v199
	.loc	1 60 49                         ; attention_aot.py:60:49 @[ attention_aot.py:287:12 ]
	;; [unrolled: 4-line block ×15, first 2 shown]
	v_cndmask_b32_e32 v47, v213, v47, vcc
	.loc	1 71 39                         ; attention_aot.py:71:39 @[ attention_aot.py:287:12 ]
	v_cmp_lt_u32_e32 vcc, v141, v101
	.loc	1 78 63                         ; attention_aot.py:78:63 @[ attention_aot.py:287:12 ]
	v_cndmask_b32_e32 v144, 0, v143, vcc
	.loc	1 71 39                         ; attention_aot.py:71:39 @[ attention_aot.py:287:12 ]
	v_cmp_gt_u32_e32 vcc, v141, v101
	.loc	1 78 63                         ; attention_aot.py:78:63 @[ attention_aot.py:287:12 ]
	v_cndmask_b32_e64 v151, v143, 0, vcc
	.loc	1 71 39                         ; attention_aot.py:71:39 @[ attention_aot.py:287:12 ]
	v_cmp_lt_u32_e32 vcc, v141, v91
	.loc	1 78 63                         ; attention_aot.py:78:63 @[ attention_aot.py:287:12 ]
	v_cndmask_b32_e32 v152, 0, v143, vcc
	.loc	1 71 39                         ; attention_aot.py:71:39 @[ attention_aot.py:287:12 ]
	v_cmp_lt_u32_e32 vcc, v141, v92
	.loc	1 78 63                         ; attention_aot.py:78:63 @[ attention_aot.py:287:12 ]
	v_cndmask_b32_e32 v153, 0, v143, vcc
	;; [unrolled: 4-line block ×16, first 2 shown]
	.loc	1 71 39                         ; attention_aot.py:71:39 @[ attention_aot.py:287:12 ]
	v_cmp_lt_u32_e32 vcc, v141, v110
	.loc	1 78 45                         ; attention_aot.py:78:45 @[ attention_aot.py:287:12 ]
	v_fmac_f32_e32 v144, 0x3fb8aa3b, v18
	v_fmac_f32_e32 v151, 0x3fb8aa3b, v19
	.loc	1 78 63 is_stmt 0               ; attention_aot.py:78:63 @[ attention_aot.py:287:12 ]
	v_cndmask_b32_e32 v168, 0, v143, vcc
	.loc	1 71 39 is_stmt 1               ; attention_aot.py:71:39 @[ attention_aot.py:287:12 ]
	v_cmp_lt_u32_e32 vcc, v141, v111
	.loc	1 78 45                         ; attention_aot.py:78:45 @[ attention_aot.py:287:12 ]
	v_fmac_f32_e32 v152, 0x3fb8aa3b, v20
	v_fmac_f32_e32 v153, 0x3fb8aa3b, v21
.Ltmp135:
	.loc	2 170 27                        ; standard.py:170:27 @[ standard.py:191:40 @[ attention_aot.py:80:46 @[ attention_aot.py:287:12 ] ] ]
	v_max_f32_e32 v18, v144, v151
.Ltmp136:
	.loc	1 78 63                         ; attention_aot.py:78:63 @[ attention_aot.py:287:12 ]
	v_cndmask_b32_e32 v169, 0, v143, vcc
	.loc	1 71 39                         ; attention_aot.py:71:39 @[ attention_aot.py:287:12 ]
	v_cmp_lt_u32_e32 vcc, v141, v112
	.loc	1 78 45                         ; attention_aot.py:78:45 @[ attention_aot.py:287:12 ]
	v_fmac_f32_e32 v154, 0x3fb8aa3b, v22
	v_fmac_f32_e32 v155, 0x3fb8aa3b, v23
.Ltmp137:
	.loc	2 170 27                        ; standard.py:170:27 @[ standard.py:191:40 @[ attention_aot.py:80:46 @[ attention_aot.py:287:12 ] ] ]
	v_max3_f32 v18, v18, v152, v153
.Ltmp138:
	.loc	1 78 63                         ; attention_aot.py:78:63 @[ attention_aot.py:287:12 ]
	v_cndmask_b32_e32 v186, 0, v143, vcc
	.loc	1 71 39                         ; attention_aot.py:71:39 @[ attention_aot.py:287:12 ]
	v_cmp_lt_u32_e32 vcc, v141, v113
	.loc	1 78 45                         ; attention_aot.py:78:45 @[ attention_aot.py:287:12 ]
	v_fmac_f32_e32 v156, 0x3fb8aa3b, v24
	v_fmac_f32_e32 v157, 0x3fb8aa3b, v25
.Ltmp139:
	.loc	2 170 27                        ; standard.py:170:27 @[ standard.py:191:40 @[ attention_aot.py:80:46 @[ attention_aot.py:287:12 ] ] ]
	v_max3_f32 v18, v18, v154, v155
.Ltmp140:
	.loc	1 78 63                         ; attention_aot.py:78:63 @[ attention_aot.py:287:12 ]
	v_cndmask_b32_e32 v187, 0, v143, vcc
	.loc	1 71 39                         ; attention_aot.py:71:39 @[ attention_aot.py:287:12 ]
	v_cmp_lt_u32_e32 vcc, v141, v114
	.loc	1 78 45                         ; attention_aot.py:78:45 @[ attention_aot.py:287:12 ]
	v_fmac_f32_e32 v158, 0x3fb8aa3b, v26
	v_fmac_f32_e32 v159, 0x3fb8aa3b, v27
.Ltmp141:
	.loc	2 170 27                        ; standard.py:170:27 @[ standard.py:191:40 @[ attention_aot.py:80:46 @[ attention_aot.py:287:12 ] ] ]
	v_max3_f32 v18, v18, v156, v157
.Ltmp142:
	.loc	1 78 63                         ; attention_aot.py:78:63 @[ attention_aot.py:287:12 ]
	v_cndmask_b32_e32 v188, 0, v143, vcc
	.loc	1 71 39                         ; attention_aot.py:71:39 @[ attention_aot.py:287:12 ]
	v_cmp_lt_u32_e32 vcc, v141, v115
	.loc	1 78 45                         ; attention_aot.py:78:45 @[ attention_aot.py:287:12 ]
	v_fmac_f32_e32 v160, 0x3fb8aa3b, v28
	v_fmac_f32_e32 v161, 0x3fb8aa3b, v29
.Ltmp143:
	.loc	2 170 27                        ; standard.py:170:27 @[ standard.py:191:40 @[ attention_aot.py:80:46 @[ attention_aot.py:287:12 ] ] ]
	v_max3_f32 v18, v18, v158, v159
.Ltmp144:
	.loc	1 78 63                         ; attention_aot.py:78:63 @[ attention_aot.py:287:12 ]
	v_cndmask_b32_e32 v189, 0, v143, vcc
	.loc	1 71 39                         ; attention_aot.py:71:39 @[ attention_aot.py:287:12 ]
	v_cmp_lt_u32_e32 vcc, v141, v116
	.loc	1 78 45                         ; attention_aot.py:78:45 @[ attention_aot.py:287:12 ]
	v_fmac_f32_e32 v162, 0x3fb8aa3b, v30
	v_fmac_f32_e32 v163, 0x3fb8aa3b, v31
.Ltmp145:
	.loc	2 170 27                        ; standard.py:170:27 @[ standard.py:191:40 @[ attention_aot.py:80:46 @[ attention_aot.py:287:12 ] ] ]
	v_max3_f32 v18, v18, v160, v161
.Ltmp146:
	.loc	1 78 26                         ; attention_aot.py:78:26 @[ attention_aot.py:287:12 ]
	v_mul_f32_e32 v32, s14, v32
	v_mul_f32_e32 v33, s14, v33
	.loc	1 78 63 is_stmt 0               ; attention_aot.py:78:63 @[ attention_aot.py:287:12 ]
	v_cndmask_b32_e32 v190, 0, v143, vcc
	.loc	1 71 39 is_stmt 1               ; attention_aot.py:71:39 @[ attention_aot.py:287:12 ]
	v_cmp_lt_u32_e32 vcc, v141, v117
	.loc	1 78 45                         ; attention_aot.py:78:45 @[ attention_aot.py:287:12 ]
	v_fmac_f32_e32 v164, 0x3fb8aa3b, v85
	v_fmac_f32_e32 v165, 0x3fb8aa3b, v142
.Ltmp147:
	.loc	2 170 27                        ; standard.py:170:27 @[ standard.py:191:40 @[ attention_aot.py:80:46 @[ attention_aot.py:287:12 ] ] ]
	v_max3_f32 v18, v18, v162, v163
.Ltmp148:
	.loc	1 78 26                         ; attention_aot.py:78:26 @[ attention_aot.py:287:12 ]
	v_mul_f32_e32 v34, s14, v34
	v_mul_f32_e32 v35, s14, v35
	.loc	1 78 63 is_stmt 0               ; attention_aot.py:78:63 @[ attention_aot.py:287:12 ]
	v_cndmask_b32_e32 v191, 0, v143, vcc
	.loc	1 71 39 is_stmt 1               ; attention_aot.py:71:39 @[ attention_aot.py:287:12 ]
	v_cmp_lt_u32_e32 vcc, v141, v135
	.loc	1 78 45                         ; attention_aot.py:78:45 @[ attention_aot.py:287:12 ]
	v_fmac_f32_e32 v166, 0x3fb8aa3b, v32
	v_fmac_f32_e32 v167, 0x3fb8aa3b, v33
.Ltmp149:
	.loc	2 170 27                        ; standard.py:170:27 @[ standard.py:191:40 @[ attention_aot.py:80:46 @[ attention_aot.py:287:12 ] ] ]
	v_max3_f32 v18, v18, v164, v165
.Ltmp150:
	.loc	1 78 26                         ; attention_aot.py:78:26 @[ attention_aot.py:287:12 ]
	v_mul_f32_e32 v36, s14, v36
	v_mul_f32_e32 v37, s14, v37
	.loc	1 78 63 is_stmt 0               ; attention_aot.py:78:63 @[ attention_aot.py:287:12 ]
	v_cndmask_b32_e32 v192, 0, v143, vcc
	.loc	1 71 39 is_stmt 1               ; attention_aot.py:71:39 @[ attention_aot.py:287:12 ]
	v_cmp_lt_u32_e32 vcc, v141, v136
	.loc	1 78 45                         ; attention_aot.py:78:45 @[ attention_aot.py:287:12 ]
	v_fmac_f32_e32 v168, 0x3fb8aa3b, v34
	v_fmac_f32_e32 v169, 0x3fb8aa3b, v35
.Ltmp151:
	.loc	2 170 27                        ; standard.py:170:27 @[ standard.py:191:40 @[ attention_aot.py:80:46 @[ attention_aot.py:287:12 ] ] ]
	v_max3_f32 v18, v18, v166, v167
.Ltmp152:
	.loc	1 78 26                         ; attention_aot.py:78:26 @[ attention_aot.py:287:12 ]
	v_mul_f32_e32 v38, s14, v38
	v_mul_f32_e32 v39, s14, v39
	.loc	1 78 63 is_stmt 0               ; attention_aot.py:78:63 @[ attention_aot.py:287:12 ]
	v_cndmask_b32_e32 v193, 0, v143, vcc
	.loc	1 71 39 is_stmt 1               ; attention_aot.py:71:39 @[ attention_aot.py:287:12 ]
	v_cmp_lt_u32_e32 vcc, v141, v137
	.loc	1 78 45                         ; attention_aot.py:78:45 @[ attention_aot.py:287:12 ]
	v_fmac_f32_e32 v186, 0x3fb8aa3b, v36
	v_fmac_f32_e32 v187, 0x3fb8aa3b, v37
.Ltmp153:
	.loc	2 170 27                        ; standard.py:170:27 @[ standard.py:191:40 @[ attention_aot.py:80:46 @[ attention_aot.py:287:12 ] ] ]
	v_max3_f32 v18, v18, v168, v169
.Ltmp154:
	.loc	1 78 26                         ; attention_aot.py:78:26 @[ attention_aot.py:287:12 ]
	v_mul_f32_e32 v40, s14, v40
	v_mul_f32_e32 v41, s14, v41
	.loc	1 78 63 is_stmt 0               ; attention_aot.py:78:63 @[ attention_aot.py:287:12 ]
	v_cndmask_b32_e32 v194, 0, v143, vcc
	.loc	1 71 39 is_stmt 1               ; attention_aot.py:71:39 @[ attention_aot.py:287:12 ]
	v_cmp_lt_u32_e32 vcc, v141, v138
	.loc	1 78 45                         ; attention_aot.py:78:45 @[ attention_aot.py:287:12 ]
	v_fmac_f32_e32 v188, 0x3fb8aa3b, v38
	v_fmac_f32_e32 v189, 0x3fb8aa3b, v39
.Ltmp155:
	.loc	2 170 27                        ; standard.py:170:27 @[ standard.py:191:40 @[ attention_aot.py:80:46 @[ attention_aot.py:287:12 ] ] ]
	v_max3_f32 v18, v18, v186, v187
.Ltmp156:
	.loc	1 78 26                         ; attention_aot.py:78:26 @[ attention_aot.py:287:12 ]
	v_mul_f32_e32 v42, s14, v42
	v_mul_f32_e32 v43, s14, v43
	.loc	1 78 63 is_stmt 0               ; attention_aot.py:78:63 @[ attention_aot.py:287:12 ]
	v_cndmask_b32_e32 v195, 0, v143, vcc
	.loc	1 71 39 is_stmt 1               ; attention_aot.py:71:39 @[ attention_aot.py:287:12 ]
	v_cmp_lt_u32_e32 vcc, v141, v139
	.loc	1 78 45                         ; attention_aot.py:78:45 @[ attention_aot.py:287:12 ]
	v_fmac_f32_e32 v190, 0x3fb8aa3b, v40
	v_fmac_f32_e32 v191, 0x3fb8aa3b, v41
.Ltmp157:
	.loc	2 170 27                        ; standard.py:170:27 @[ standard.py:191:40 @[ attention_aot.py:80:46 @[ attention_aot.py:287:12 ] ] ]
	v_max3_f32 v18, v18, v188, v189
.Ltmp158:
	.loc	1 78 26                         ; attention_aot.py:78:26 @[ attention_aot.py:287:12 ]
	v_mul_f32_e32 v44, s14, v44
	v_mul_f32_e32 v45, s14, v45
	.loc	1 78 63 is_stmt 0               ; attention_aot.py:78:63 @[ attention_aot.py:287:12 ]
	v_cndmask_b32_e32 v196, 0, v143, vcc
	.loc	1 71 39 is_stmt 1               ; attention_aot.py:71:39 @[ attention_aot.py:287:12 ]
	v_cmp_lt_u32_e32 vcc, v141, v140
	.loc	1 78 45                         ; attention_aot.py:78:45 @[ attention_aot.py:287:12 ]
	v_fmac_f32_e32 v192, 0x3fb8aa3b, v42
	v_fmac_f32_e32 v193, 0x3fb8aa3b, v43
.Ltmp159:
	.loc	2 170 27                        ; standard.py:170:27 @[ standard.py:191:40 @[ attention_aot.py:80:46 @[ attention_aot.py:287:12 ] ] ]
	v_max3_f32 v18, v18, v190, v191
.Ltmp160:
	.loc	1 78 26                         ; attention_aot.py:78:26 @[ attention_aot.py:287:12 ]
	v_mul_f32_e32 v46, s14, v46
	v_mul_f32_e32 v47, s14, v47
	.loc	1 78 63 is_stmt 0               ; attention_aot.py:78:63 @[ attention_aot.py:287:12 ]
	v_cndmask_b32_e32 v143, 0, v143, vcc
	.loc	1 78 45                         ; attention_aot.py:78:45 @[ attention_aot.py:287:12 ]
	v_fmac_f32_e32 v194, 0x3fb8aa3b, v44
	v_fmac_f32_e32 v195, 0x3fb8aa3b, v45
.Ltmp161:
	.loc	2 170 27 is_stmt 1              ; standard.py:170:27 @[ standard.py:191:40 @[ attention_aot.py:80:46 @[ attention_aot.py:287:12 ] ] ]
	v_max3_f32 v18, v18, v192, v193
.Ltmp162:
	.loc	1 78 45                         ; attention_aot.py:78:45 @[ attention_aot.py:287:12 ]
	v_fmac_f32_e32 v196, 0x3fb8aa3b, v46
	v_fmac_f32_e32 v143, 0x3fb8aa3b, v47
.Ltmp163:
	.loc	2 170 27                        ; standard.py:170:27 @[ standard.py:191:40 @[ attention_aot.py:80:46 @[ attention_aot.py:287:12 ] ] ]
	v_max3_f32 v18, v18, v194, v195
	v_max3_f32 v18, v18, v196, v143
.Ltmp164:
	.loc	2 191 40                        ; standard.py:191:40 @[ attention_aot.py:80:46 @[ attention_aot.py:287:12 ] ]
	ds_bpermute_b32 v19, v1, v18
	v_add_u32_e32 v22, v86, v118
	v_add_u32_e32 v21, v89, v134
	v_lshlrev_b32_e32 v85, 2, v119
	v_add_u32_e32 v20, 0, v85
.Ltmp165:
	.loc	1 80 35                         ; attention_aot.py:80:35 @[ attention_aot.py:287:12 ]
	s_waitcnt lgkmcnt(0)
	v_max3_f32 v86, v102, v18, v19
	.loc	1 81 18                         ; attention_aot.py:81:18 @[ attention_aot.py:287:12 ]
	v_sub_f32_e32 v18, v144, v86
	v_sub_f32_e32 v19, v151, v86
	;; [unrolled: 1-line block ×3, first 2 shown]
	.loc	1 89 25                         ; attention_aot.py:89:25 @[ attention_aot.py:287:12 ]
	v_exp_f32_e32 v152, v18
	.loc	1 81 18                         ; attention_aot.py:81:18 @[ attention_aot.py:287:12 ]
	v_sub_f32_e32 v24, v153, v86
	.loc	1 89 25                         ; attention_aot.py:89:25 @[ attention_aot.py:287:12 ]
	v_exp_f32_e32 v153, v19
	.loc	1 81 18                         ; attention_aot.py:81:18 @[ attention_aot.py:287:12 ]
	v_sub_f32_e32 v25, v154, v86
	v_sub_f32_e32 v38, v167, v86
	;; [unrolled: 1-line block ×16, first 2 shown]
	.loc	1 89 25                         ; attention_aot.py:89:25 @[ attention_aot.py:287:12 ]
	v_exp_f32_e32 v154, v23
	.loc	1 81 18                         ; attention_aot.py:81:18 @[ attention_aot.py:287:12 ]
	v_sub_f32_e32 v26, v155, v86
	v_sub_f32_e32 v27, v156, v86
	;; [unrolled: 1-line block ×12, first 2 shown]
	.loc	1 89 25                         ; attention_aot.py:89:25 @[ attention_aot.py:287:12 ]
	v_exp_f32_e32 v155, v24
	v_exp_f32_e32 v38, v38
	;; [unrolled: 1-line block ×16, first 2 shown]
	.loc	1 92 35                         ; attention_aot.py:92:35 @[ attention_aot.py:287:12 ]
	v_sub_f32_e32 v18, v102, v86
	.loc	1 89 25                         ; attention_aot.py:89:25 @[ attention_aot.py:287:12 ]
	v_exp_f32_e32 v156, v25
	v_exp_f32_e32 v157, v26
	;; [unrolled: 1-line block ×13, first 2 shown]
	.loc	1 92 29                         ; attention_aot.py:92:29 @[ attention_aot.py:287:12 ]
	v_exp_f32_e32 v187, v18
	.loc	1 102 21                        ; attention_aot.py:102:21 @[ attention_aot.py:287:12 ]
	v_cvt_f16_f32_e32 v19, v152
	.loc	1 95 20                         ; attention_aot.py:95:20 @[ attention_aot.py:287:12 ]
	v_add_u32_e32 v134, v20, v121
	v_add_u32_e32 v142, v20, v120
	.loc	1 102 21                        ; attention_aot.py:102:21 @[ attention_aot.py:287:12 ]
	v_cvt_f16_f32_e32 v20, v153
	v_cvt_f16_f32_e32 v23, v154
	;; [unrolled: 1-line block ×18, first 2 shown]
	v_add_u32_e32 v131, v21, v131
	v_add_u32_e32 v133, v21, v133
	.loc	1 95 20                         ; attention_aot.py:95:20 @[ attention_aot.py:287:12 ]
	ds_write_b32 v134, v187
	s_waitcnt lgkmcnt(0)
	s_barrier
	ds_read_b32 v18, v142
	.loc	1 102 21                        ; attention_aot.py:102:21 @[ attention_aot.py:287:12 ]
	v_cvt_f16_f32_e32 v25, v156
	v_cvt_f16_f32_e32 v26, v157
	;; [unrolled: 1-line block ×13, first 2 shown]
	s_waitcnt lgkmcnt(0)
	s_barrier
	ds_write_b16 v131, v19
	ds_write_b16 v131, v20 offset:256
	ds_write_b16 v131, v23 offset:512
	;; [unrolled: 1-line block ×31, first 2 shown]
	s_waitcnt lgkmcnt(0)
	s_barrier
	ds_read_u16 v19, v133
	ds_read_u16 v20, v133 offset:256
	ds_read_u16 v21, v133 offset:512
	;; [unrolled: 1-line block ×31, first 2 shown]
	.loc	1 56 28                         ; attention_aot.py:56:28 @[ attention_aot.py:287:12 ]
	s_waitcnt lgkmcnt(0)
	s_barrier
	ds_write_b16 v80, v88
	ds_write_b16 v81, v87
	ds_write_b16 v80, v146 offset:2048
	ds_write_b16 v82, v145
	ds_write_b16 v80, v148 offset:4096
	;; [unrolled: 2-line block ×3, first 2 shown]
	ds_write_b16 v84, v149
	v_add_u32_e32 v88, v22, v132
	s_waitcnt lgkmcnt(0)
	s_barrier
	ds_read_u16 v22, v88
	ds_read_u16 v24, v88 offset:128
	ds_read_u16 v25, v88 offset:256
	;; [unrolled: 1-line block ×7, first 2 shown]
	.loc	1 104 31                        ; attention_aot.py:104:31 @[ attention_aot.py:287:12 ]
	s_waitcnt lgkmcnt(4)
	v_perm_b32 v37, v26, v25, s34
	v_perm_b32 v36, v24, v22, s34
	;; [unrolled: 1-line block ×4, first 2 shown]
	v_pk_mul_f32 v[32:33], v[16:17], v[18:19] op_sel_hi:[1,0]
	v_pk_mul_f32 v[30:31], v[14:15], v[18:19] op_sel_hi:[1,0]
	;; [unrolled: 1-line block ×8, first 2 shown]
.Ltmp166:
	.loc	2 263 15                        ; standard.py:263:15 @[ standard.py:293:36 @[ attention_aot.py:90:25 @[ attention_aot.py:287:12 ] ] ]
	v_add_f32_e32 v147, v152, v153
.Ltmp167:
	.loc	1 104 31                        ; attention_aot.py:104:31 @[ attention_aot.py:287:12 ]
	s_nop 0
	v_mfma_f32_32x32x8f16 v[18:33], v[36:37], v[34:35], v[18:33]
	s_waitcnt lgkmcnt(0)
	v_perm_b32 v35, v146, v145, s34
	v_perm_b32 v34, v132, v87, s34
	;; [unrolled: 1-line block ×4, first 2 shown]
	s_nop 1
	v_mfma_f32_32x32x8f16 v[18:33], v[34:35], v[36:37], v[18:33]
	.loc	1 56 28                         ; attention_aot.py:56:28 @[ attention_aot.py:287:12 ]
	ds_read_u16 v34, v88 offset:2048
	ds_read_u16 v36, v88 offset:2176
	;; [unrolled: 1-line block ×8, first 2 shown]
	.loc	1 104 31                        ; attention_aot.py:104:31 @[ attention_aot.py:287:12 ]
	s_waitcnt lgkmcnt(4)
	v_perm_b32 v35, v37, v35, s34
	v_perm_b32 v34, v36, v34, s34
	v_perm_b32 v37, v195, v194, s34
	v_perm_b32 v36, v193, v192, s34
	s_nop 1
	v_mfma_f32_32x32x8f16 v[18:33], v[34:35], v[36:37], v[18:33]
.Ltmp168:
	.loc	2 263 15                        ; standard.py:263:15 @[ standard.py:293:36 @[ attention_aot.py:90:25 @[ attention_aot.py:287:12 ] ] ]
	v_add_f32_e32 v34, v154, v147
	v_add_f32_e32 v34, v155, v34
	;; [unrolled: 1-line block ×9, first 2 shown]
.Ltmp169:
	.loc	1 104 31                        ; attention_aot.py:104:31 @[ attention_aot.py:287:12 ]
	s_waitcnt lgkmcnt(0)
	v_perm_b32 v35, v146, v145, s34
	v_perm_b32 v34, v132, v87, s34
.Ltmp170:
	.loc	2 263 15                        ; standard.py:263:15 @[ standard.py:293:36 @[ attention_aot.py:90:25 @[ attention_aot.py:287:12 ] ] ]
	v_add_f32_e32 v36, v163, v36
	v_add_f32_e32 v87, v164, v36
.Ltmp171:
	.loc	1 104 31                        ; attention_aot.py:104:31 @[ attention_aot.py:287:12 ]
	v_perm_b32 v37, v199, v198, s34
	v_perm_b32 v36, v197, v196, s34
	s_nop 1
	v_mfma_f32_32x32x8f16 v[18:33], v[34:35], v[36:37], v[18:33]
.Ltmp172:
	.loc	2 263 15                        ; standard.py:263:15 @[ standard.py:293:36 @[ attention_aot.py:90:25 @[ attention_aot.py:287:12 ] ] ]
	v_add_f32_e32 v36, v165, v87
.Ltmp173:
	.loc	1 56 28                         ; attention_aot.py:56:28 @[ attention_aot.py:287:12 ]
	ds_read_u16 v34, v88 offset:4096
	ds_read_u16 v37, v88 offset:4224
	;; [unrolled: 1-line block ×8, first 2 shown]
	.loc	1 104 31                        ; attention_aot.py:104:31 @[ attention_aot.py:287:12 ]
	s_waitcnt lgkmcnt(4)
	v_perm_b32 v35, v87, v35, s34
	v_perm_b32 v34, v37, v34, s34
.Ltmp174:
	.loc	2 263 15                        ; standard.py:263:15 @[ standard.py:293:36 @[ attention_aot.py:90:25 @[ attention_aot.py:287:12 ] ] ]
	v_add_f32_e32 v36, v166, v36
	v_add_f32_e32 v87, v167, v36
.Ltmp175:
	.loc	1 104 31                        ; attention_aot.py:104:31 @[ attention_aot.py:287:12 ]
	v_perm_b32 v37, v203, v202, s34
	v_perm_b32 v36, v201, v200, s34
	s_nop 1
	v_mfma_f32_32x32x8f16 v[18:33], v[34:35], v[36:37], v[18:33]
.Ltmp176:
	.loc	2 263 15                        ; standard.py:263:15 @[ standard.py:293:36 @[ attention_aot.py:90:25 @[ attention_aot.py:287:12 ] ] ]
	v_add_f32_e32 v34, v168, v87
	v_add_f32_e32 v34, v38, v34
	v_add_f32_e32 v34, v39, v34
	v_add_f32_e32 v34, v40, v34
	v_add_f32_e32 v34, v41, v34
	v_add_f32_e32 v34, v42, v34
	v_add_f32_e32 v34, v43, v34
	v_add_f32_e32 v34, v44, v34
	v_add_f32_e32 v36, v45, v34
.Ltmp177:
	.loc	1 104 31                        ; attention_aot.py:104:31 @[ attention_aot.py:287:12 ]
	s_waitcnt lgkmcnt(0)
	v_perm_b32 v35, v147, v146, s34
	v_perm_b32 v34, v145, v132, s34
.Ltmp178:
	.loc	2 263 15                        ; standard.py:263:15 @[ standard.py:293:36 @[ attention_aot.py:90:25 @[ attention_aot.py:287:12 ] ] ]
	v_add_f32_e32 v36, v46, v36
	v_add_f32_e32 v38, v47, v36
.Ltmp179:
	.loc	1 104 31                        ; attention_aot.py:104:31 @[ attention_aot.py:287:12 ]
	v_perm_b32 v37, v207, v206, s34
	v_perm_b32 v36, v205, v204, s34
	s_nop 1
	v_mfma_f32_32x32x8f16 v[18:33], v[34:35], v[36:37], v[18:33]
.Ltmp180:
	.loc	2 263 15                        ; standard.py:263:15 @[ standard.py:293:36 @[ attention_aot.py:90:25 @[ attention_aot.py:287:12 ] ] ]
	v_add_f32_e32 v36, v169, v38
.Ltmp181:
	.loc	1 56 28                         ; attention_aot.py:56:28 @[ attention_aot.py:287:12 ]
	ds_read_u16 v34, v88 offset:6144
	ds_read_u16 v37, v88 offset:6272
	ds_read_u16 v35, v88 offset:6400
	ds_read_u16 v38, v88 offset:6528
	ds_read_u16 v39, v88 offset:7168
	ds_read_u16 v40, v88 offset:7296
	ds_read_u16 v41, v88 offset:7424
	ds_read_u16 v42, v88 offset:7552
	.loc	1 104 31                        ; attention_aot.py:104:31 @[ attention_aot.py:287:12 ]
	s_waitcnt lgkmcnt(4)
	v_perm_b32 v35, v38, v35, s34
	v_perm_b32 v34, v37, v34, s34
.Ltmp182:
	.loc	2 263 15                        ; standard.py:263:15 @[ standard.py:293:36 @[ attention_aot.py:90:25 @[ attention_aot.py:287:12 ] ] ]
	v_add_f32_e32 v36, v186, v36
	v_add_f32_e32 v38, v144, v36
.Ltmp183:
	.loc	1 104 31                        ; attention_aot.py:104:31 @[ attention_aot.py:287:12 ]
	v_perm_b32 v37, v211, v210, s34
	v_perm_b32 v36, v209, v208, s34
	s_nop 1
	v_mfma_f32_32x32x8f16 v[18:33], v[34:35], v[36:37], v[18:33]
.Ltmp184:
	.loc	2 263 15                        ; standard.py:263:15 @[ standard.py:293:36 @[ attention_aot.py:90:25 @[ attention_aot.py:287:12 ] ] ]
	v_add_f32_e32 v34, v151, v38
	v_add_f32_e32 v34, v143, v34
.Ltmp185:
	.loc	2 293 36                        ; standard.py:293:36 @[ attention_aot.py:90:25 @[ attention_aot.py:287:12 ] ]
	ds_bpermute_b32 v35, v1, v34
.Ltmp186:
	.loc	1 104 31                        ; attention_aot.py:104:31 @[ attention_aot.py:287:12 ]
	v_perm_b32 v37, v215, v214, s34
	v_perm_b32 v36, v213, v212, s34
.Ltmp187:
	.loc	2 263 15                        ; standard.py:263:15 @[ standard.py:293:36 @[ attention_aot.py:90:25 @[ attention_aot.py:287:12 ] ] ]
	s_waitcnt lgkmcnt(0)
	v_add_f32_e32 v87, v34, v35
.Ltmp188:
	.loc	1 104 31                        ; attention_aot.py:104:31 @[ attention_aot.py:287:12 ]
	v_perm_b32 v35, v42, v41, s34
	v_perm_b32 v34, v40, v39, s34
	.loc	1 93 28                         ; attention_aot.py:93:28 @[ attention_aot.py:287:12 ]
	v_fmac_f32_e32 v87, v103, v187
	.loc	1 104 31                        ; attention_aot.py:104:31 @[ attention_aot.py:287:12 ]
	s_nop 0
	v_mfma_f32_32x32x8f16 v[18:33], v[34:35], v[36:37], v[18:33]
	.loc	1 50 33                         ; attention_aot.py:50:33 @[ attention_aot.py:287:12 ]
	s_cbranch_scc1 .LBB0_135
; %bb.102:
	.loc	1 51 34                         ; attention_aot.py:51:34 @[ attention_aot.py:287:12 ]
	v_or_b32_e32 v34, s4, v130
	s_ashr_i32 s49, s48, 31
	.loc	1 51 44 is_stmt 0               ; attention_aot.py:51:44 @[ attention_aot.py:287:12 ]
	v_cmp_gt_i32_e32 vcc, s61, v34
	v_mov_b32_e32 v34, 0
	v_mov_b32_e32 v35, 0
	.loc	1 54 22 is_stmt 1               ; attention_aot.py:54:22 @[ attention_aot.py:287:12 ]
	s_and_saveexec_b64 s[2:3], vcc
	s_cbranch_execz .LBB0_104
; %bb.103:
	.loc	1 108 23                        ; attention_aot.py:108:23 @[ attention_aot.py:287:12 ]
	s_lshl_b64 s[0:1], s[48:49], 1
	v_mov_b32_e32 v35, s1
	v_add_co_u32_e64 v36, s[0:1], s0, v66
	v_addc_co_u32_e64 v37, s[0:1], v67, v35, s[0:1]
	.loc	1 54 22                         ; attention_aot.py:54:22 @[ attention_aot.py:287:12 ]
	global_load_ushort v35, v[36:37], off
.LBB0_104:
	.loc	1 0 22 is_stmt 0                ; attention_aot.py:0:22
	s_or_b64 exec, exec, s[2:3]
	.loc	1 54 22                         ; attention_aot.py:54:22 @[ attention_aot.py:287:12 ]
	s_and_saveexec_b64 s[2:3], vcc
	s_cbranch_execz .LBB0_106
; %bb.105:
	.loc	1 108 23 is_stmt 1              ; attention_aot.py:108:23 @[ attention_aot.py:287:12 ]
	s_lshl_b64 s[0:1], s[48:49], 1
	v_mov_b32_e32 v34, s1
	v_add_co_u32_e64 v36, s[0:1], s0, v64
	v_addc_co_u32_e64 v37, s[0:1], v65, v34, s[0:1]
	.loc	1 54 22                         ; attention_aot.py:54:22 @[ attention_aot.py:287:12 ]
	global_load_ushort v34, v[36:37], off
.LBB0_106:
	.loc	1 0 22 is_stmt 0                ; attention_aot.py:0:22
	s_or_b64 exec, exec, s[2:3]
	v_mov_b32_e32 v36, 0
	v_mov_b32_e32 v37, 0
	.loc	1 54 22                         ; attention_aot.py:54:22 @[ attention_aot.py:287:12 ]
	s_and_saveexec_b64 s[2:3], vcc
	s_cbranch_execz .LBB0_108
; %bb.107:
	.loc	1 108 23 is_stmt 1              ; attention_aot.py:108:23 @[ attention_aot.py:287:12 ]
	s_lshl_b64 s[0:1], s[48:49], 1
	v_mov_b32_e32 v37, s1
	v_add_co_u32_e64 v38, s[0:1], s0, v62
	v_addc_co_u32_e64 v39, s[0:1], v63, v37, s[0:1]
	.loc	1 54 22                         ; attention_aot.py:54:22 @[ attention_aot.py:287:12 ]
	global_load_ushort v37, v[38:39], off
.LBB0_108:
	.loc	1 0 22 is_stmt 0                ; attention_aot.py:0:22
	s_or_b64 exec, exec, s[2:3]
	.loc	1 54 22                         ; attention_aot.py:54:22 @[ attention_aot.py:287:12 ]
	s_and_saveexec_b64 s[2:3], vcc
	s_cbranch_execz .LBB0_110
; %bb.109:
	.loc	1 108 23 is_stmt 1              ; attention_aot.py:108:23 @[ attention_aot.py:287:12 ]
	s_lshl_b64 s[0:1], s[48:49], 1
	v_mov_b32_e32 v36, s1
	v_add_co_u32_e64 v38, s[0:1], s0, v60
	v_addc_co_u32_e64 v39, s[0:1], v61, v36, s[0:1]
	.loc	1 54 22                         ; attention_aot.py:54:22 @[ attention_aot.py:287:12 ]
	global_load_ushort v36, v[38:39], off
.LBB0_110:
	.loc	1 0 22 is_stmt 0                ; attention_aot.py:0:22
	s_or_b64 exec, exec, s[2:3]
	v_mov_b32_e32 v38, 0
	v_mov_b32_e32 v39, 0
	.loc	1 54 22                         ; attention_aot.py:54:22 @[ attention_aot.py:287:12 ]
	s_and_saveexec_b64 s[2:3], vcc
	s_cbranch_execz .LBB0_112
; %bb.111:
	.loc	1 108 23 is_stmt 1              ; attention_aot.py:108:23 @[ attention_aot.py:287:12 ]
	s_lshl_b64 s[0:1], s[48:49], 1
	v_mov_b32_e32 v39, s1
	v_add_co_u32_e64 v40, s[0:1], s0, v58
	v_addc_co_u32_e64 v41, s[0:1], v59, v39, s[0:1]
	.loc	1 54 22                         ; attention_aot.py:54:22 @[ attention_aot.py:287:12 ]
	global_load_ushort v39, v[40:41], off
.LBB0_112:
	;; [unrolled: 30-line block ×3, first 2 shown]
	.loc	1 0 22 is_stmt 0                ; attention_aot.py:0:22
	s_or_b64 exec, exec, s[2:3]
	.loc	1 54 22                         ; attention_aot.py:54:22 @[ attention_aot.py:287:12 ]
	s_and_saveexec_b64 s[0:1], vcc
	s_cbranch_execz .LBB0_118
; %bb.117:
	.loc	1 108 23 is_stmt 1              ; attention_aot.py:108:23 @[ attention_aot.py:287:12 ]
	s_lshl_b64 s[2:3], s[48:49], 1
	v_mov_b32_e32 v40, s3
	v_add_co_u32_e32 v42, vcc, s2, v52
	v_addc_co_u32_e32 v43, vcc, v53, v40, vcc
	.loc	1 54 22                         ; attention_aot.py:54:22 @[ attention_aot.py:287:12 ]
	global_load_ushort v40, v[42:43], off
.LBB0_118:
	.loc	1 0 22 is_stmt 0                ; attention_aot.py:0:22
	s_or_b64 exec, exec, s[0:1]
	.loc	1 51 34 is_stmt 1               ; attention_aot.py:51:34 @[ attention_aot.py:287:12 ]
	v_or_b32_e32 v42, s4, v122
	.loc	1 51 44 is_stmt 0               ; attention_aot.py:51:44 @[ attention_aot.py:287:12 ]
	v_cmp_gt_i32_e32 vcc, s61, v42
	s_ashr_i32 s45, s44, 31
	v_mov_b32_e32 v64, 0
	v_mov_b32_e32 v65, 0
	.loc	1 56 28 is_stmt 1               ; attention_aot.py:56:28 @[ attention_aot.py:287:12 ]
	s_and_saveexec_b64 s[0:1], vcc
	s_cbranch_execz .LBB0_120
; %bb.119:
	.loc	1 109 23                        ; attention_aot.py:109:23 @[ attention_aot.py:287:12 ]
	s_lshl_b64 s[2:3], s[44:45], 1
	v_mov_b32_e32 v43, s3
	v_add_co_u32_e32 v42, vcc, s2, v50
	v_addc_co_u32_e32 v43, vcc, v51, v43, vcc
	.loc	1 56 28                         ; attention_aot.py:56:28 @[ attention_aot.py:287:12 ]
	global_load_ushort v65, v[42:43], off
.LBB0_120:
	.loc	1 0 28 is_stmt 0                ; attention_aot.py:0:28
	s_or_b64 exec, exec, s[0:1]
	.loc	1 51 34 is_stmt 1               ; attention_aot.py:51:34 @[ attention_aot.py:287:12 ]
	v_or_b32_e32 v42, s4, v123
	.loc	1 51 44 is_stmt 0               ; attention_aot.py:51:44 @[ attention_aot.py:287:12 ]
	v_cmp_gt_i32_e32 vcc, s61, v42
	.loc	1 56 28 is_stmt 1               ; attention_aot.py:56:28 @[ attention_aot.py:287:12 ]
	s_and_saveexec_b64 s[0:1], vcc
	s_cbranch_execz .LBB0_122
; %bb.121:
	.loc	1 109 23                        ; attention_aot.py:109:23 @[ attention_aot.py:287:12 ]
	s_lshl_b64 s[2:3], s[44:45], 1
	v_mov_b32_e32 v43, s3
	v_add_co_u32_e32 v42, vcc, s2, v48
	v_addc_co_u32_e32 v43, vcc, v49, v43, vcc
	.loc	1 56 28                         ; attention_aot.py:56:28 @[ attention_aot.py:287:12 ]
	global_load_ushort v64, v[42:43], off
.LBB0_122:
	.loc	1 0 28 is_stmt 0                ; attention_aot.py:0:28
	s_or_b64 exec, exec, s[0:1]
	.loc	1 51 34 is_stmt 1               ; attention_aot.py:51:34 @[ attention_aot.py:287:12 ]
	v_or_b32_e32 v42, s4, v124
	.loc	1 51 44 is_stmt 0               ; attention_aot.py:51:44 @[ attention_aot.py:287:12 ]
	v_cmp_gt_i32_e32 vcc, s61, v42
	v_mov_b32_e32 v66, 0
	v_mov_b32_e32 v67, 0
	.loc	1 56 28 is_stmt 1               ; attention_aot.py:56:28 @[ attention_aot.py:287:12 ]
	s_and_saveexec_b64 s[0:1], vcc
	s_cbranch_execz .LBB0_124
; %bb.123:
	.loc	1 109 23                        ; attention_aot.py:109:23 @[ attention_aot.py:287:12 ]
	s_lshl_b64 s[2:3], s[44:45], 1
	v_mov_b32_e32 v43, s3
	v_add_co_u32_e32 v42, vcc, s2, v68
	v_addc_co_u32_e32 v43, vcc, v69, v43, vcc
	.loc	1 56 28                         ; attention_aot.py:56:28 @[ attention_aot.py:287:12 ]
	global_load_ushort v67, v[42:43], off
.LBB0_124:
	.loc	1 0 28 is_stmt 0                ; attention_aot.py:0:28
	s_or_b64 exec, exec, s[0:1]
	.loc	1 51 34 is_stmt 1               ; attention_aot.py:51:34 @[ attention_aot.py:287:12 ]
	v_or_b32_e32 v42, s4, v125
	.loc	1 51 44 is_stmt 0               ; attention_aot.py:51:44 @[ attention_aot.py:287:12 ]
	v_cmp_gt_i32_e32 vcc, s61, v42
	.loc	1 56 28 is_stmt 1               ; attention_aot.py:56:28 @[ attention_aot.py:287:12 ]
	s_and_saveexec_b64 s[0:1], vcc
	s_cbranch_execz .LBB0_126
; %bb.125:
	.loc	1 109 23                        ; attention_aot.py:109:23 @[ attention_aot.py:287:12 ]
	s_lshl_b64 s[2:3], s[44:45], 1
	v_mov_b32_e32 v43, s3
	v_add_co_u32_e32 v42, vcc, s2, v70
	v_addc_co_u32_e32 v43, vcc, v71, v43, vcc
	.loc	1 56 28                         ; attention_aot.py:56:28 @[ attention_aot.py:287:12 ]
	global_load_ushort v66, v[42:43], off
.LBB0_126:
	.loc	1 0 28 is_stmt 0                ; attention_aot.py:0:28
	s_or_b64 exec, exec, s[0:1]
	.loc	1 51 34 is_stmt 1               ; attention_aot.py:51:34 @[ attention_aot.py:287:12 ]
	v_or_b32_e32 v42, s4, v126
	.loc	1 51 44 is_stmt 0               ; attention_aot.py:51:44 @[ attention_aot.py:287:12 ]
	v_cmp_gt_i32_e32 vcc, s61, v42
	;; [unrolled: 38-line block ×3, first 2 shown]
	v_mov_b32_e32 v70, 0
	v_mov_b32_e32 v71, 0
	.loc	1 56 28 is_stmt 1               ; attention_aot.py:56:28 @[ attention_aot.py:287:12 ]
	s_and_saveexec_b64 s[0:1], vcc
	s_cbranch_execz .LBB0_132
; %bb.131:
	.loc	1 109 23                        ; attention_aot.py:109:23 @[ attention_aot.py:287:12 ]
	s_lshl_b64 s[2:3], s[44:45], 1
	v_mov_b32_e32 v43, s3
	v_add_co_u32_e32 v42, vcc, s2, v76
	v_addc_co_u32_e32 v43, vcc, v77, v43, vcc
	.loc	1 56 28                         ; attention_aot.py:56:28 @[ attention_aot.py:287:12 ]
	global_load_ushort v71, v[42:43], off
.LBB0_132:
	.loc	1 0 28 is_stmt 0                ; attention_aot.py:0:28
	s_or_b64 exec, exec, s[0:1]
	.loc	1 51 34 is_stmt 1               ; attention_aot.py:51:34 @[ attention_aot.py:287:12 ]
	v_or_b32_e32 v42, s4, v129
	.loc	1 51 44 is_stmt 0               ; attention_aot.py:51:44 @[ attention_aot.py:287:12 ]
	v_cmp_gt_i32_e32 vcc, s61, v42
	.loc	1 56 28 is_stmt 1               ; attention_aot.py:56:28 @[ attention_aot.py:287:12 ]
	s_and_saveexec_b64 s[0:1], vcc
	s_cbranch_execz .LBB0_134
; %bb.133:
	.loc	1 109 23                        ; attention_aot.py:109:23 @[ attention_aot.py:287:12 ]
	s_lshl_b64 s[2:3], s[44:45], 1
	v_mov_b32_e32 v43, s3
	v_add_co_u32_e32 v42, vcc, s2, v78
	v_addc_co_u32_e32 v43, vcc, v79, v43, vcc
	.loc	1 56 28                         ; attention_aot.py:56:28 @[ attention_aot.py:287:12 ]
	global_load_ushort v70, v[42:43], off
.LBB0_134:
	.loc	1 0 28 is_stmt 0                ; attention_aot.py:0:28
	s_or_b64 exec, exec, s[0:1]
	.loc	1 51 34 is_stmt 1               ; attention_aot.py:51:34 @[ attention_aot.py:287:12 ]
	v_or_b32_e32 v123, s4, v90
	v_or_b32_e32 v124, s4, v91
	;; [unrolled: 1-line block ×21, first 2 shown]
.Ltmp189:
	.loc	1 178 33                        ; attention_aot.py:178:33
	v_or_b32_e32 v74, s15, v141
.Ltmp190:
	.loc	1 54 22                         ; attention_aot.py:54:22 @[ attention_aot.py:287:12 ]
	s_waitcnt lgkmcnt(0)
	s_barrier
	s_waitcnt vmcnt(0)
	ds_write_b16 v80, v35
	ds_write_b16 v81, v34
	ds_write_b16 v80, v37 offset:2048
	ds_write_b16 v82, v36
	ds_write_b16 v80, v39 offset:4096
	;; [unrolled: 2-line block ×3, first 2 shown]
	ds_write_b16 v84, v40
	s_waitcnt lgkmcnt(0)
	s_barrier
	ds_read_u16 v34, v89
	ds_read_u16 v35, v89 offset:128
	ds_read_u16 v36, v89 offset:256
	;; [unrolled: 1-line block ×63, first 2 shown]
	.loc	1 58 27                         ; attention_aot.py:58:27 @[ attention_aot.py:287:12 ]
	s_waitcnt lgkmcnt(14)
	v_perm_b32 v51, v37, v36, s34
	v_perm_b32 v50, v35, v34, s34
	;; [unrolled: 1-line block ×12, first 2 shown]
	v_mfma_f32_32x32x8f16 v[34:49], v[50:51], v[184:185], 0
	v_perm_b32 v54, v56, v54, s34
	v_perm_b32 v56, v59, v58, s34
	;; [unrolled: 1-line block ×4, first 2 shown]
	s_waitcnt lgkmcnt(12)
	v_perm_b32 v63, v151, v150, s34
	v_perm_b32 v62, v141, v140, s34
	s_waitcnt lgkmcnt(4)
	v_perm_b32 v79, v159, v158, s34
	v_perm_b32 v78, v157, v156, s34
	;; [unrolled: 1-line block ×6, first 2 shown]
	s_waitcnt lgkmcnt(0)
	v_perm_b32 v108, v162, v89, s34
	.loc	1 60 49                         ; attention_aot.py:60:49 @[ attention_aot.py:287:12 ]
	v_mov_b32_e32 v89, 0xff800000
	.loc	1 51 44                         ; attention_aot.py:51:44 @[ attention_aot.py:287:12 ]
	v_cmp_gt_i32_e64 s[30:31], s61, v146
	.loc	1 58 27                         ; attention_aot.py:58:27 @[ attention_aot.py:287:12 ]
	v_mfma_f32_32x32x8f16 v[34:49], v[52:53], v[176:177], v[34:49]
	v_perm_b32 v96, v104, v105, s34
	v_perm_b32 v99, v106, v107, s34
	;; [unrolled: 1-line block ×7, first 2 shown]
	.loc	1 51 34                         ; attention_aot.py:51:34 @[ attention_aot.py:287:12 ]
	v_or_b32_e32 v122, s4, v101
	.loc	1 51 44 is_stmt 0               ; attention_aot.py:51:44 @[ attention_aot.py:287:12 ]
	v_cmp_gt_i32_e32 vcc, s61, v122
	.loc	1 51 34                         ; attention_aot.py:51:34 @[ attention_aot.py:287:12 ]
	v_or_b32_e32 v110, s4, v110
	v_or_b32_e32 v111, s4, v111
	;; [unrolled: 1-line block ×6, first 2 shown]
	.loc	1 58 27 is_stmt 1               ; attention_aot.py:58:27 @[ attention_aot.py:287:12 ]
	v_mfma_f32_32x32x8f16 v[34:49], v[54:55], v[174:175], v[34:49]
	.loc	1 51 34                         ; attention_aot.py:51:34 @[ attention_aot.py:287:12 ]
	v_or_b32_e32 v116, s4, v116
	v_or_b32_e32 v117, s4, v117
	;; [unrolled: 1-line block ×4, first 2 shown]
	.loc	1 51 44 is_stmt 0               ; attention_aot.py:51:44 @[ attention_aot.py:287:12 ]
	v_cmp_gt_i32_e64 s[0:1], s61, v123
	v_cmp_gt_i32_e64 s[2:3], s61, v124
	;; [unrolled: 1-line block ×11, first 2 shown]
	.loc	1 58 27 is_stmt 1               ; attention_aot.py:58:27 @[ attention_aot.py:287:12 ]
	v_mfma_f32_32x32x8f16 v[34:49], v[56:57], v[172:173], v[34:49]
	.loc	1 51 44                         ; attention_aot.py:51:44 @[ attention_aot.py:287:12 ]
	v_cmp_gt_i32_e64 s[22:23], s61, v144
	v_cmp_gt_i32_e64 s[24:25], s61, v145
	.loc	1 95 20                         ; attention_aot.py:95:20 @[ attention_aot.py:287:12 ]
	s_waitcnt lgkmcnt(0)
	s_barrier
	.loc	1 58 27                         ; attention_aot.py:58:27 @[ attention_aot.py:287:12 ]
	v_mfma_f32_32x32x8f16 v[34:49], v[58:59], v[182:183], v[34:49]
	v_mfma_f32_32x32x8f16 v[34:49], v[60:61], v[180:181], v[34:49]
	;; [unrolled: 1-line block ×4, first 2 shown]
	.loc	1 60 49                         ; attention_aot.py:60:49 @[ attention_aot.py:287:12 ]
	s_nop 15
	s_nop 2
	v_cndmask_b32_e64 v78, v89, v48, s[30:31]
	.loc	1 51 44                         ; attention_aot.py:51:44 @[ attention_aot.py:287:12 ]
	v_cmp_gt_i32_e64 s[30:31], s61, v147
	.loc	1 60 49                         ; attention_aot.py:60:49 @[ attention_aot.py:287:12 ]
	v_cndmask_b32_e64 v79, v89, v49, s[30:31]
	.loc	1 58 27                         ; attention_aot.py:58:27 @[ attention_aot.py:287:12 ]
	v_mfma_f32_32x32x8f16 v[48:63], v[90:91], v[184:185], 0
	.loc	1 60 49                         ; attention_aot.py:60:49 @[ attention_aot.py:287:12 ]
	v_cndmask_b32_e32 v34, v89, v34, vcc
	.loc	1 51 44                         ; attention_aot.py:51:44 @[ attention_aot.py:287:12 ]
	v_cmp_gt_i32_e32 vcc, s61, v148
	.loc	1 60 49                         ; attention_aot.py:60:49 @[ attention_aot.py:287:12 ]
	v_cndmask_b32_e64 v35, v89, v35, s[0:1]
	v_cndmask_b32_e64 v36, v89, v36, s[2:3]
	;; [unrolled: 1-line block ×13, first 2 shown]
	.loc	1 58 27                         ; attention_aot.py:58:27 @[ attention_aot.py:287:12 ]
	v_mfma_f32_32x32x8f16 v[48:63], v[92:93], v[176:177], v[48:63]
	.loc	1 78 26                         ; attention_aot.py:78:26 @[ attention_aot.py:287:12 ]
	v_mul_f32_e32 v34, s14, v34
	v_mul_f32_e32 v35, s14, v35
	;; [unrolled: 1-line block ×15, first 2 shown]
	.loc	1 58 27                         ; attention_aot.py:58:27 @[ attention_aot.py:287:12 ]
	v_mfma_f32_32x32x8f16 v[48:63], v[94:95], v[174:175], v[48:63]
	.loc	1 78 26                         ; attention_aot.py:78:26 @[ attention_aot.py:287:12 ]
	v_mul_f32_e32 v79, s14, v79
	.loc	1 58 27                         ; attention_aot.py:58:27 @[ attention_aot.py:287:12 ]
	v_mfma_f32_32x32x8f16 v[48:63], v[96:97], v[172:173], v[48:63]
	v_mfma_f32_32x32x8f16 v[48:63], v[98:99], v[182:183], v[48:63]
	;; [unrolled: 1-line block ×5, first 2 shown]
	.loc	1 60 49                         ; attention_aot.py:60:49 @[ attention_aot.py:287:12 ]
	s_nop 15
	s_nop 2
	v_cndmask_b32_e32 v48, v89, v48, vcc
	.loc	1 51 44                         ; attention_aot.py:51:44 @[ attention_aot.py:287:12 ]
	v_cmp_gt_i32_e32 vcc, s61, v149
	.loc	1 60 49                         ; attention_aot.py:60:49 @[ attention_aot.py:287:12 ]
	v_cndmask_b32_e32 v49, v89, v49, vcc
	.loc	1 51 44                         ; attention_aot.py:51:44 @[ attention_aot.py:287:12 ]
	v_cmp_gt_i32_e32 vcc, s61, v110
	.loc	1 60 49                         ; attention_aot.py:60:49 @[ attention_aot.py:287:12 ]
	;; [unrolled: 4-line block ×15, first 2 shown]
	v_cndmask_b32_e32 v63, v89, v63, vcc
	.loc	1 78 63                         ; attention_aot.py:78:63 @[ attention_aot.py:287:12 ]
	v_mov_b32_e32 v89, 0xc9742400
	.loc	1 71 39                         ; attention_aot.py:71:39 @[ attention_aot.py:287:12 ]
	v_cmp_lt_i32_e32 vcc, v74, v122
	.loc	1 78 63                         ; attention_aot.py:78:63 @[ attention_aot.py:287:12 ]
	v_cndmask_b32_e32 v90, 0, v89, vcc
	.loc	1 71 39                         ; attention_aot.py:71:39 @[ attention_aot.py:287:12 ]
	v_cmp_lt_i32_e32 vcc, v74, v123
	.loc	1 78 63                         ; attention_aot.py:78:63 @[ attention_aot.py:287:12 ]
	v_cndmask_b32_e32 v91, 0, v89, vcc
	;; [unrolled: 4-line block ×18, first 2 shown]
	.loc	1 71 39                         ; attention_aot.py:71:39 @[ attention_aot.py:287:12 ]
	v_cmp_lt_i32_e32 vcc, v74, v110
	.loc	1 78 45                         ; attention_aot.py:78:45 @[ attention_aot.py:287:12 ]
	v_fmac_f32_e32 v90, 0x3fb8aa3b, v34
	v_fmac_f32_e32 v91, 0x3fb8aa3b, v35
	.loc	1 78 63 is_stmt 0               ; attention_aot.py:78:63 @[ attention_aot.py:287:12 ]
	v_cndmask_b32_e32 v110, 0, v89, vcc
	.loc	1 71 39 is_stmt 1               ; attention_aot.py:71:39 @[ attention_aot.py:287:12 ]
	v_cmp_lt_i32_e32 vcc, v74, v111
	.loc	1 78 45                         ; attention_aot.py:78:45 @[ attention_aot.py:287:12 ]
	v_fmac_f32_e32 v92, 0x3fb8aa3b, v36
	v_fmac_f32_e32 v93, 0x3fb8aa3b, v37
.Ltmp191:
	.loc	2 170 27                        ; standard.py:170:27 @[ standard.py:191:40 @[ attention_aot.py:80:46 @[ attention_aot.py:287:12 ] ] ]
	v_max_f32_e32 v34, v90, v91
.Ltmp192:
	.loc	1 78 63                         ; attention_aot.py:78:63 @[ attention_aot.py:287:12 ]
	v_cndmask_b32_e32 v111, 0, v89, vcc
	.loc	1 71 39                         ; attention_aot.py:71:39 @[ attention_aot.py:287:12 ]
	v_cmp_lt_i32_e32 vcc, v74, v112
	.loc	1 78 45                         ; attention_aot.py:78:45 @[ attention_aot.py:287:12 ]
	v_fmac_f32_e32 v94, 0x3fb8aa3b, v38
	v_fmac_f32_e32 v95, 0x3fb8aa3b, v39
.Ltmp193:
	.loc	2 170 27                        ; standard.py:170:27 @[ standard.py:191:40 @[ attention_aot.py:80:46 @[ attention_aot.py:287:12 ] ] ]
	v_max3_f32 v34, v34, v92, v93
.Ltmp194:
	.loc	1 78 63                         ; attention_aot.py:78:63 @[ attention_aot.py:287:12 ]
	v_cndmask_b32_e32 v112, 0, v89, vcc
	.loc	1 71 39                         ; attention_aot.py:71:39 @[ attention_aot.py:287:12 ]
	v_cmp_lt_i32_e32 vcc, v74, v113
	.loc	1 78 45                         ; attention_aot.py:78:45 @[ attention_aot.py:287:12 ]
	v_fmac_f32_e32 v96, 0x3fb8aa3b, v40
	v_fmac_f32_e32 v97, 0x3fb8aa3b, v41
.Ltmp195:
	.loc	2 170 27                        ; standard.py:170:27 @[ standard.py:191:40 @[ attention_aot.py:80:46 @[ attention_aot.py:287:12 ] ] ]
	v_max3_f32 v34, v34, v94, v95
.Ltmp196:
	.loc	1 78 63                         ; attention_aot.py:78:63 @[ attention_aot.py:287:12 ]
	v_cndmask_b32_e32 v113, 0, v89, vcc
	.loc	1 71 39                         ; attention_aot.py:71:39 @[ attention_aot.py:287:12 ]
	v_cmp_lt_i32_e32 vcc, v74, v114
	.loc	1 78 45                         ; attention_aot.py:78:45 @[ attention_aot.py:287:12 ]
	v_fmac_f32_e32 v98, 0x3fb8aa3b, v42
	v_fmac_f32_e32 v99, 0x3fb8aa3b, v43
.Ltmp197:
	.loc	2 170 27                        ; standard.py:170:27 @[ standard.py:191:40 @[ attention_aot.py:80:46 @[ attention_aot.py:287:12 ] ] ]
	v_max3_f32 v34, v34, v96, v97
.Ltmp198:
	.loc	1 78 63                         ; attention_aot.py:78:63 @[ attention_aot.py:287:12 ]
	v_cndmask_b32_e32 v114, 0, v89, vcc
	.loc	1 71 39                         ; attention_aot.py:71:39 @[ attention_aot.py:287:12 ]
	v_cmp_lt_i32_e32 vcc, v74, v115
	.loc	1 78 45                         ; attention_aot.py:78:45 @[ attention_aot.py:287:12 ]
	v_fmac_f32_e32 v104, 0x3fb8aa3b, v44
	v_fmac_f32_e32 v100, 0x3fb8aa3b, v45
.Ltmp199:
	.loc	2 170 27                        ; standard.py:170:27 @[ standard.py:191:40 @[ attention_aot.py:80:46 @[ attention_aot.py:287:12 ] ] ]
	v_max3_f32 v34, v34, v98, v99
.Ltmp200:
	.loc	1 78 63                         ; attention_aot.py:78:63 @[ attention_aot.py:287:12 ]
	v_cndmask_b32_e32 v115, 0, v89, vcc
	.loc	1 71 39                         ; attention_aot.py:71:39 @[ attention_aot.py:287:12 ]
	v_cmp_lt_i32_e32 vcc, v74, v116
	.loc	1 78 45                         ; attention_aot.py:78:45 @[ attention_aot.py:287:12 ]
	v_fmac_f32_e32 v105, 0x3fb8aa3b, v46
	v_fmac_f32_e32 v106, 0x3fb8aa3b, v47
.Ltmp201:
	.loc	2 170 27                        ; standard.py:170:27 @[ standard.py:191:40 @[ attention_aot.py:80:46 @[ attention_aot.py:287:12 ] ] ]
	v_max3_f32 v34, v34, v104, v100
.Ltmp202:
	.loc	1 78 26                         ; attention_aot.py:78:26 @[ attention_aot.py:287:12 ]
	v_mul_f32_e32 v48, s14, v48
	v_mul_f32_e32 v49, s14, v49
	.loc	1 78 63 is_stmt 0               ; attention_aot.py:78:63 @[ attention_aot.py:287:12 ]
	v_cndmask_b32_e32 v116, 0, v89, vcc
	.loc	1 71 39 is_stmt 1               ; attention_aot.py:71:39 @[ attention_aot.py:287:12 ]
	v_cmp_lt_i32_e32 vcc, v74, v117
	.loc	1 78 45                         ; attention_aot.py:78:45 @[ attention_aot.py:287:12 ]
	v_fmac_f32_e32 v107, 0x3fb8aa3b, v78
	v_fmac_f32_e32 v108, 0x3fb8aa3b, v79
.Ltmp203:
	.loc	2 170 27                        ; standard.py:170:27 @[ standard.py:191:40 @[ attention_aot.py:80:46 @[ attention_aot.py:287:12 ] ] ]
	v_max3_f32 v34, v34, v105, v106
.Ltmp204:
	.loc	1 78 26                         ; attention_aot.py:78:26 @[ attention_aot.py:287:12 ]
	v_mul_f32_e32 v50, s14, v50
	v_mul_f32_e32 v51, s14, v51
	.loc	1 78 63 is_stmt 0               ; attention_aot.py:78:63 @[ attention_aot.py:287:12 ]
	v_cndmask_b32_e32 v117, 0, v89, vcc
	.loc	1 71 39 is_stmt 1               ; attention_aot.py:71:39 @[ attention_aot.py:287:12 ]
	v_cmp_lt_i32_e32 vcc, v74, v135
	.loc	1 78 45                         ; attention_aot.py:78:45 @[ attention_aot.py:287:12 ]
	v_fmac_f32_e32 v109, 0x3fb8aa3b, v48
	v_fmac_f32_e32 v122, 0x3fb8aa3b, v49
.Ltmp205:
	.loc	2 170 27                        ; standard.py:170:27 @[ standard.py:191:40 @[ attention_aot.py:80:46 @[ attention_aot.py:287:12 ] ] ]
	v_max3_f32 v34, v34, v107, v108
.Ltmp206:
	.loc	1 78 26                         ; attention_aot.py:78:26 @[ attention_aot.py:287:12 ]
	v_mul_f32_e32 v52, s14, v52
	v_mul_f32_e32 v53, s14, v53
	.loc	1 78 63 is_stmt 0               ; attention_aot.py:78:63 @[ attention_aot.py:287:12 ]
	v_cndmask_b32_e32 v123, 0, v89, vcc
	.loc	1 71 39 is_stmt 1               ; attention_aot.py:71:39 @[ attention_aot.py:287:12 ]
	v_cmp_lt_i32_e32 vcc, v74, v77
	.loc	1 78 45                         ; attention_aot.py:78:45 @[ attention_aot.py:287:12 ]
	v_fmac_f32_e32 v110, 0x3fb8aa3b, v50
	v_fmac_f32_e32 v111, 0x3fb8aa3b, v51
.Ltmp207:
	.loc	2 170 27                        ; standard.py:170:27 @[ standard.py:191:40 @[ attention_aot.py:80:46 @[ attention_aot.py:287:12 ] ] ]
	v_max3_f32 v34, v34, v109, v122
.Ltmp208:
	.loc	1 78 26                         ; attention_aot.py:78:26 @[ attention_aot.py:287:12 ]
	v_mul_f32_e32 v54, s14, v54
	v_mul_f32_e32 v55, s14, v55
	.loc	1 78 63 is_stmt 0               ; attention_aot.py:78:63 @[ attention_aot.py:287:12 ]
	v_cndmask_b32_e32 v77, 0, v89, vcc
	.loc	1 71 39 is_stmt 1               ; attention_aot.py:71:39 @[ attention_aot.py:287:12 ]
	v_cmp_lt_i32_e32 vcc, v74, v76
	.loc	1 78 45                         ; attention_aot.py:78:45 @[ attention_aot.py:287:12 ]
	v_fmac_f32_e32 v112, 0x3fb8aa3b, v52
	v_fmac_f32_e32 v113, 0x3fb8aa3b, v53
.Ltmp209:
	.loc	2 170 27                        ; standard.py:170:27 @[ standard.py:191:40 @[ attention_aot.py:80:46 @[ attention_aot.py:287:12 ] ] ]
	v_max3_f32 v34, v34, v110, v111
.Ltmp210:
	.loc	1 78 26                         ; attention_aot.py:78:26 @[ attention_aot.py:287:12 ]
	v_mul_f32_e32 v56, s14, v56
	v_mul_f32_e32 v57, s14, v57
	.loc	1 78 63 is_stmt 0               ; attention_aot.py:78:63 @[ attention_aot.py:287:12 ]
	v_cndmask_b32_e32 v76, 0, v89, vcc
	.loc	1 71 39 is_stmt 1               ; attention_aot.py:71:39 @[ attention_aot.py:287:12 ]
	v_cmp_lt_i32_e32 vcc, v74, v75
	.loc	1 78 45                         ; attention_aot.py:78:45 @[ attention_aot.py:287:12 ]
	v_fmac_f32_e32 v114, 0x3fb8aa3b, v54
	v_fmac_f32_e32 v115, 0x3fb8aa3b, v55
.Ltmp211:
	.loc	2 170 27                        ; standard.py:170:27 @[ standard.py:191:40 @[ attention_aot.py:80:46 @[ attention_aot.py:287:12 ] ] ]
	v_max3_f32 v34, v34, v112, v113
.Ltmp212:
	.loc	1 78 26                         ; attention_aot.py:78:26 @[ attention_aot.py:287:12 ]
	v_mul_f32_e32 v58, s14, v58
	v_mul_f32_e32 v59, s14, v59
	.loc	1 78 63 is_stmt 0               ; attention_aot.py:78:63 @[ attention_aot.py:287:12 ]
	v_cndmask_b32_e32 v75, 0, v89, vcc
	.loc	1 71 39 is_stmt 1               ; attention_aot.py:71:39 @[ attention_aot.py:287:12 ]
	v_cmp_lt_i32_e32 vcc, v74, v73
	.loc	1 78 45                         ; attention_aot.py:78:45 @[ attention_aot.py:287:12 ]
	v_fmac_f32_e32 v116, 0x3fb8aa3b, v56
	v_fmac_f32_e32 v117, 0x3fb8aa3b, v57
.Ltmp213:
	.loc	2 170 27                        ; standard.py:170:27 @[ standard.py:191:40 @[ attention_aot.py:80:46 @[ attention_aot.py:287:12 ] ] ]
	v_max3_f32 v34, v34, v114, v115
.Ltmp214:
	.loc	1 78 26                         ; attention_aot.py:78:26 @[ attention_aot.py:287:12 ]
	v_mul_f32_e32 v60, s14, v60
	v_mul_f32_e32 v61, s14, v61
	.loc	1 78 63 is_stmt 0               ; attention_aot.py:78:63 @[ attention_aot.py:287:12 ]
	v_cndmask_b32_e32 v73, 0, v89, vcc
	.loc	1 71 39 is_stmt 1               ; attention_aot.py:71:39 @[ attention_aot.py:287:12 ]
	v_cmp_lt_i32_e32 vcc, v74, v72
	.loc	1 78 45                         ; attention_aot.py:78:45 @[ attention_aot.py:287:12 ]
	v_fmac_f32_e32 v123, 0x3fb8aa3b, v58
	v_fmac_f32_e32 v77, 0x3fb8aa3b, v59
.Ltmp215:
	.loc	2 170 27                        ; standard.py:170:27 @[ standard.py:191:40 @[ attention_aot.py:80:46 @[ attention_aot.py:287:12 ] ] ]
	v_max3_f32 v34, v34, v116, v117
.Ltmp216:
	.loc	1 78 26                         ; attention_aot.py:78:26 @[ attention_aot.py:287:12 ]
	v_mul_f32_e32 v62, s14, v62
	v_mul_f32_e32 v63, s14, v63
	.loc	1 78 63 is_stmt 0               ; attention_aot.py:78:63 @[ attention_aot.py:287:12 ]
	v_cndmask_b32_e32 v72, 0, v89, vcc
	.loc	1 78 45                         ; attention_aot.py:78:45 @[ attention_aot.py:287:12 ]
	v_fmac_f32_e32 v76, 0x3fb8aa3b, v60
	v_fmac_f32_e32 v75, 0x3fb8aa3b, v61
.Ltmp217:
	.loc	2 170 27 is_stmt 1              ; standard.py:170:27 @[ standard.py:191:40 @[ attention_aot.py:80:46 @[ attention_aot.py:287:12 ] ] ]
	v_max3_f32 v34, v34, v123, v77
.Ltmp218:
	.loc	1 78 45                         ; attention_aot.py:78:45 @[ attention_aot.py:287:12 ]
	v_fmac_f32_e32 v73, 0x3fb8aa3b, v62
	v_fmac_f32_e32 v72, 0x3fb8aa3b, v63
.Ltmp219:
	.loc	2 170 27                        ; standard.py:170:27 @[ standard.py:191:40 @[ attention_aot.py:80:46 @[ attention_aot.py:287:12 ] ] ]
	v_max3_f32 v34, v34, v76, v75
	v_max3_f32 v34, v34, v73, v72
.Ltmp220:
	.loc	2 191 40                        ; standard.py:191:40 @[ attention_aot.py:80:46 @[ attention_aot.py:287:12 ] ]
	ds_bpermute_b32 v35, v1, v34
.Ltmp221:
	.loc	1 80 35                         ; attention_aot.py:80:35 @[ attention_aot.py:287:12 ]
	s_waitcnt lgkmcnt(0)
	v_max3_f32 v40, v86, v34, v35
	.loc	1 81 18                         ; attention_aot.py:81:18 @[ attention_aot.py:287:12 ]
	v_sub_f32_e32 v34, v90, v40
	v_sub_f32_e32 v35, v91, v40
	;; [unrolled: 1-line block ×3, first 2 shown]
	.loc	1 89 25                         ; attention_aot.py:89:25 @[ attention_aot.py:287:12 ]
	v_exp_f32_e32 v75, v34
	.loc	1 81 18                         ; attention_aot.py:81:18 @[ attention_aot.py:287:12 ]
	v_sub_f32_e32 v36, v92, v40
	v_sub_f32_e32 v63, v76, v40
	.loc	1 89 25                         ; attention_aot.py:89:25 @[ attention_aot.py:287:12 ]
	v_exp_f32_e32 v76, v35
	.loc	1 81 18                         ; attention_aot.py:81:18 @[ attention_aot.py:287:12 ]
	v_sub_f32_e32 v37, v93, v40
	v_sub_f32_e32 v38, v94, v40
	;; [unrolled: 1-line block ×27, first 2 shown]
	.loc	1 89 25                         ; attention_aot.py:89:25 @[ attention_aot.py:287:12 ]
	v_exp_f32_e32 v77, v36
	v_exp_f32_e32 v78, v37
	;; [unrolled: 1-line block ×29, first 2 shown]
	.loc	1 92 35                         ; attention_aot.py:92:35 @[ attention_aot.py:287:12 ]
	v_sub_f32_e32 v34, v86, v40
	.loc	1 89 25                         ; attention_aot.py:89:25 @[ attention_aot.py:287:12 ]
	v_exp_f32_e32 v72, v72
	.loc	1 92 29                         ; attention_aot.py:92:29 @[ attention_aot.py:287:12 ]
	v_exp_f32_e32 v86, v34
	.loc	1 102 21                        ; attention_aot.py:102:21 @[ attention_aot.py:287:12 ]
	v_cvt_f16_f32_e32 v35, v75
	v_cvt_f16_f32_e32 v36, v76
	;; [unrolled: 1-line block ×32, first 2 shown]
	.loc	1 95 20                         ; attention_aot.py:95:20 @[ attention_aot.py:287:12 ]
	ds_write_b32 v134, v86
	s_waitcnt lgkmcnt(0)
	s_barrier
	ds_read_b32 v34, v142
	.loc	1 102 21                        ; attention_aot.py:102:21 @[ attention_aot.py:287:12 ]
	s_waitcnt lgkmcnt(0)
	s_barrier
	ds_write_b16 v131, v35
	ds_write_b16 v131, v36 offset:256
	ds_write_b16 v131, v37 offset:512
	;; [unrolled: 1-line block ×31, first 2 shown]
	s_waitcnt lgkmcnt(0)
	s_barrier
	ds_read_u16 v35, v133
	ds_read_u16 v36, v133 offset:256
	ds_read_u16 v37, v133 offset:512
	;; [unrolled: 1-line block ×31, first 2 shown]
	.loc	1 56 28                         ; attention_aot.py:56:28 @[ attention_aot.py:287:12 ]
	s_waitcnt lgkmcnt(0)
	s_barrier
	ds_write_b16 v80, v65
	ds_write_b16 v81, v64
	ds_write_b16 v80, v67 offset:2048
	ds_write_b16 v82, v66
	ds_write_b16 v80, v69 offset:4096
	ds_write_b16 v83, v68
	ds_write_b16 v80, v71 offset:6144
	ds_write_b16 v84, v70
	s_waitcnt lgkmcnt(0)
	s_barrier
	ds_read_u16 v64, v88
	ds_read_u16 v65, v88 offset:128
	ds_read_u16 v39, v88 offset:256
	ds_read_u16 v66, v88 offset:384
	ds_read_u16 v67, v88 offset:1024
	ds_read_u16 v68, v88 offset:1152
	ds_read_u16 v69, v88 offset:1280
	ds_read_u16 v70, v88 offset:1408
	.loc	1 104 31                        ; attention_aot.py:104:31 @[ attention_aot.py:287:12 ]
	v_perm_b32 v37, v38, v37, s34
	s_waitcnt lgkmcnt(4)
	v_perm_b32 v39, v66, v39, s34
	v_perm_b32 v38, v65, v64, s34
	;; [unrolled: 1-line block ×3, first 2 shown]
	v_pk_mul_f32 v[32:33], v[32:33], v[34:35] op_sel_hi:[1,0]
	v_pk_mul_f32 v[30:31], v[30:31], v[34:35] op_sel_hi:[1,0]
	;; [unrolled: 1-line block ×8, first 2 shown]
	s_waitcnt lgkmcnt(0)
	v_perm_b32 v35, v70, v69, s34
	v_perm_b32 v34, v68, v67, s34
	v_mfma_f32_32x32x8f16 v[18:33], v[38:39], v[36:37], v[18:33]
	v_perm_b32 v37, v93, v92, s34
	v_perm_b32 v36, v91, v90, s34
	s_nop 1
	v_mfma_f32_32x32x8f16 v[18:33], v[34:35], v[36:37], v[18:33]
	.loc	1 56 28                         ; attention_aot.py:56:28 @[ attention_aot.py:287:12 ]
	ds_read_u16 v34, v88 offset:2048
	ds_read_u16 v36, v88 offset:2176
	;; [unrolled: 1-line block ×8, first 2 shown]
	.loc	1 104 31                        ; attention_aot.py:104:31 @[ attention_aot.py:287:12 ]
	s_waitcnt lgkmcnt(4)
	v_perm_b32 v35, v37, v35, s34
	v_perm_b32 v34, v36, v34, s34
	;; [unrolled: 1-line block ×4, first 2 shown]
	s_nop 1
	v_mfma_f32_32x32x8f16 v[18:33], v[34:35], v[36:37], v[18:33]
.Ltmp222:
	.loc	2 263 15                        ; standard.py:263:15 @[ standard.py:293:36 @[ attention_aot.py:90:25 @[ attention_aot.py:287:12 ] ] ]
	v_add_f32_e32 v34, v75, v76
	v_add_f32_e32 v34, v77, v34
	;; [unrolled: 1-line block ×6, first 2 shown]
.Ltmp223:
	.loc	1 104 31                        ; attention_aot.py:104:31 @[ attention_aot.py:287:12 ]
	s_waitcnt lgkmcnt(0)
	v_perm_b32 v35, v65, v64, s34
	v_perm_b32 v34, v39, v38, s34
.Ltmp224:
	.loc	2 263 15                        ; standard.py:263:15 @[ standard.py:293:36 @[ attention_aot.py:90:25 @[ attention_aot.py:287:12 ] ] ]
	v_add_f32_e32 v36, v42, v36
	v_add_f32_e32 v38, v43, v36
.Ltmp225:
	.loc	1 104 31                        ; attention_aot.py:104:31 @[ attention_aot.py:287:12 ]
	v_perm_b32 v37, v104, v100, s34
	v_perm_b32 v36, v99, v98, s34
	s_nop 1
	v_mfma_f32_32x32x8f16 v[18:33], v[34:35], v[36:37], v[18:33]
.Ltmp226:
	.loc	2 263 15                        ; standard.py:263:15 @[ standard.py:293:36 @[ attention_aot.py:90:25 @[ attention_aot.py:287:12 ] ] ]
	v_add_f32_e32 v36, v44, v38
.Ltmp227:
	.loc	1 56 28                         ; attention_aot.py:56:28 @[ attention_aot.py:287:12 ]
	ds_read_u16 v34, v88 offset:4096
	ds_read_u16 v37, v88 offset:4224
	;; [unrolled: 1-line block ×8, first 2 shown]
	.loc	1 104 31                        ; attention_aot.py:104:31 @[ attention_aot.py:287:12 ]
	s_waitcnt lgkmcnt(4)
	v_perm_b32 v35, v38, v35, s34
	v_perm_b32 v34, v37, v34, s34
.Ltmp228:
	.loc	2 263 15                        ; standard.py:263:15 @[ standard.py:293:36 @[ attention_aot.py:90:25 @[ attention_aot.py:287:12 ] ] ]
	v_add_f32_e32 v36, v45, v36
	v_add_f32_e32 v38, v46, v36
.Ltmp229:
	.loc	1 104 31                        ; attention_aot.py:104:31 @[ attention_aot.py:287:12 ]
	v_perm_b32 v37, v108, v107, s34
	v_perm_b32 v36, v106, v105, s34
	s_nop 1
	v_mfma_f32_32x32x8f16 v[18:33], v[34:35], v[36:37], v[18:33]
.Ltmp230:
	.loc	2 263 15                        ; standard.py:263:15 @[ standard.py:293:36 @[ attention_aot.py:90:25 @[ attention_aot.py:287:12 ] ] ]
	v_add_f32_e32 v34, v47, v38
	v_add_f32_e32 v34, v48, v34
	;; [unrolled: 1-line block ×9, first 2 shown]
.Ltmp231:
	.loc	1 104 31                        ; attention_aot.py:104:31 @[ attention_aot.py:287:12 ]
	s_waitcnt lgkmcnt(0)
	v_perm_b32 v35, v43, v42, s34
	v_perm_b32 v34, v41, v39, s34
.Ltmp232:
	.loc	2 263 15                        ; standard.py:263:15 @[ standard.py:293:36 @[ attention_aot.py:90:25 @[ attention_aot.py:287:12 ] ] ]
	v_add_f32_e32 v36, v56, v36
	v_add_f32_e32 v38, v57, v36
.Ltmp233:
	.loc	1 104 31                        ; attention_aot.py:104:31 @[ attention_aot.py:287:12 ]
	v_perm_b32 v37, v112, v111, s34
	v_perm_b32 v36, v110, v109, s34
	s_nop 1
	v_mfma_f32_32x32x8f16 v[18:33], v[34:35], v[36:37], v[18:33]
.Ltmp234:
	.loc	2 263 15                        ; standard.py:263:15 @[ standard.py:293:36 @[ attention_aot.py:90:25 @[ attention_aot.py:287:12 ] ] ]
	v_add_f32_e32 v36, v58, v38
.Ltmp235:
	.loc	1 56 28                         ; attention_aot.py:56:28 @[ attention_aot.py:287:12 ]
	ds_read_u16 v34, v88 offset:6144
	ds_read_u16 v37, v88 offset:6272
	ds_read_u16 v35, v88 offset:6400
	ds_read_u16 v38, v88 offset:6528
	ds_read_u16 v39, v88 offset:7168
	ds_read_u16 v41, v88 offset:7296
	ds_read_u16 v42, v88 offset:7424
	ds_read_u16 v43, v88 offset:7552
	.loc	1 104 31                        ; attention_aot.py:104:31 @[ attention_aot.py:287:12 ]
	s_waitcnt lgkmcnt(4)
	v_perm_b32 v35, v38, v35, s34
	v_perm_b32 v34, v37, v34, s34
.Ltmp236:
	.loc	2 263 15                        ; standard.py:263:15 @[ standard.py:293:36 @[ attention_aot.py:90:25 @[ attention_aot.py:287:12 ] ] ]
	v_add_f32_e32 v36, v59, v36
	v_add_f32_e32 v38, v60, v36
.Ltmp237:
	.loc	1 104 31                        ; attention_aot.py:104:31 @[ attention_aot.py:287:12 ]
	v_perm_b32 v37, v116, v115, s34
	v_perm_b32 v36, v114, v113, s34
	s_nop 1
	v_mfma_f32_32x32x8f16 v[18:33], v[34:35], v[36:37], v[18:33]
.Ltmp238:
	.loc	2 263 15                        ; standard.py:263:15 @[ standard.py:293:36 @[ attention_aot.py:90:25 @[ attention_aot.py:287:12 ] ] ]
	v_add_f32_e32 v34, v61, v38
	v_add_f32_e32 v34, v62, v34
	;; [unrolled: 1-line block ×6, first 2 shown]
.Ltmp239:
	.loc	2 293 36                        ; standard.py:293:36 @[ attention_aot.py:90:25 @[ attention_aot.py:287:12 ] ]
	ds_bpermute_b32 v1, v1, v36
.Ltmp240:
	.loc	1 104 31                        ; attention_aot.py:104:31 @[ attention_aot.py:287:12 ]
	s_waitcnt lgkmcnt(1)
	v_perm_b32 v35, v43, v42, s34
	v_perm_b32 v34, v41, v39, s34
	;; [unrolled: 1-line block ×3, first 2 shown]
.Ltmp241:
	.loc	2 263 15                        ; standard.py:263:15 @[ standard.py:293:36 @[ attention_aot.py:90:25 @[ attention_aot.py:287:12 ] ] ]
	s_waitcnt lgkmcnt(0)
	v_add_f32_e32 v1, v36, v1
.Ltmp242:
	.loc	1 104 31                        ; attention_aot.py:104:31 @[ attention_aot.py:287:12 ]
	v_perm_b32 v36, v122, v117, s34
	.loc	1 93 28                         ; attention_aot.py:93:28 @[ attention_aot.py:287:12 ]
	v_fmac_f32_e32 v1, v87, v86
	v_mov_b32_e32 v86, v40
	.loc	1 104 31                        ; attention_aot.py:104:31 @[ attention_aot.py:287:12 ]
	v_mfma_f32_32x32x8f16 v[18:33], v[34:35], v[36:37], v[18:33]
	v_mov_b32_e32 v87, v1
.Ltmp243:
.LBB0_135:                              ; %Flow
	.loc	1 0 31 is_stmt 0                ; attention_aot.py:0:31
	s_branch .LBB0_138
.LBB0_136:
                                        ; implicit-def: $vgpr86
                                        ; implicit-def: $vgpr87
                                        ; implicit-def: $vgpr33
                                        ; implicit-def: $vgpr85
	s_cbranch_execz .LBB0_138
; %bb.137:                              ; %._crit_edge.._crit_edge168_crit_edge
	.loc	1 291 16 is_stmt 1              ; attention_aot.py:291:16
	v_lshlrev_b32_e32 v85, 2, v119
	v_mov_b32_e32 v18, v2
	v_mov_b32_e32 v19, v3
	;; [unrolled: 1-line block ×18, first 2 shown]
.LBB0_138:                              ; %._crit_edge168
	.loc	1 0 16 is_stmt 0                ; attention_aot.py:0:16
	s_mov_b32 s0, 0x800000
	.loc	1 290 24 is_stmt 1              ; attention_aot.py:290:24
	v_mov_b32_e32 v1, 0x42000000
	v_cmp_gt_f32_e32 vcc, s0, v87
	v_cndmask_b32_e32 v2, 0, v1, vcc
	v_cndmask_b32_e64 v1, 0, 32, vcc
	v_ldexp_f32 v1, v87, v1
	v_log_f32_e32 v3, v1
	.loc	1 291 16                        ; attention_aot.py:291:16
	s_waitcnt lgkmcnt(0)
	s_barrier
	.loc	1 178 46                        ; attention_aot.py:178:46
	v_and_b32_e32 v1, 0x7f, v0
	.loc	1 290 24                        ; attention_aot.py:290:24
	v_sub_f32_e32 v2, v3, v2
	.loc	1 290 11 is_stmt 0              ; attention_aot.py:290:11
	v_add_f32_e32 v3, v86, v2
	.loc	1 291 16 is_stmt 1              ; attention_aot.py:291:16
	v_add_u32_e32 v2, 0, v85
	v_add_u32_e32 v4, v2, v121
	;; [unrolled: 1-line block ×3, first 2 shown]
	ds_write_b32 v4, v87
	s_waitcnt lgkmcnt(0)
	s_barrier
	ds_read_b32 v2, v2
	.loc	1 178 33                        ; attention_aot.py:178:33
	v_or_b32_e32 v0, s15, v1
	.loc	1 179 27                        ; attention_aot.py:179:27
	v_cmp_gt_i32_e32 vcc, s60, v0
	.loc	1 293 21                        ; attention_aot.py:293:21
	v_cmp_eq_u32_e64 s[0:1], 0, v120
	s_and_b64 s[2:3], s[0:1], vcc
	s_waitcnt lgkmcnt(0)
	s_barrier
	ds_write_b32 v4, v3
	s_waitcnt lgkmcnt(0)
	s_barrier
	s_and_saveexec_b64 s[0:1], s[2:3]
	s_cbranch_execz .LBB0_140
; %bb.139:
	.loc	1 292 26                        ; attention_aot.py:292:26
	s_mul_i32 s2, s60, s16
	.loc	1 293 21                        ; attention_aot.py:293:21
	v_lshl_add_u32 v3, v1, 2, 0
	.loc	1 292 17                        ; attention_aot.py:292:17
	s_ashr_i32 s3, s2, 31
	s_lshl_b64 s[2:3], s[2:3], 2
	.loc	1 293 21                        ; attention_aot.py:293:21
	ds_read_b32 v3, v3
	.loc	1 292 17                        ; attention_aot.py:292:17
	s_add_u32 s2, s40, s2
	.loc	1 292 34 is_stmt 0              ; attention_aot.py:292:34
	v_ashrrev_i32_e32 v1, 31, v0
	.loc	1 292 17                        ; attention_aot.py:292:17
	s_addc_u32 s3, s41, s3
	.loc	1 292 34                        ; attention_aot.py:292:34
	v_lshlrev_b64 v[0:1], 2, v[0:1]
	v_mov_b32_e32 v4, s3
	v_add_co_u32_e32 v0, vcc, s2, v0
	v_addc_co_u32_e32 v1, vcc, v4, v1, vcc
	.loc	1 293 21 is_stmt 1              ; attention_aot.py:293:21
	s_waitcnt lgkmcnt(0)
	global_store_dword v[0:1], v3, off
.LBB0_140:
	.loc	1 0 21 is_stmt 0                ; attention_aot.py:0:21
	s_or_b64 exec, exec, s[0:1]
	.loc	1 178 46 is_stmt 1              ; attention_aot.py:178:46
	v_lshrrev_b32_e32 v0, 2, v120
	.loc	1 178 33 is_stmt 0              ; attention_aot.py:178:33
	v_or3_b32 v0, v119, v0, s15
	.loc	1 179 27 is_stmt 1              ; attention_aot.py:179:27
	v_cmp_gt_i32_e32 vcc, s60, v0
	.loc	1 294 26                        ; attention_aot.py:294:26
	s_and_saveexec_b64 s[0:1], vcc
	s_cbranch_execz .LBB0_142
; %bb.141:                              ; %.critedge
	.loc	1 291 16                        ; attention_aot.py:291:16
	v_div_scale_f32 v1, s[0:1], v2, v2, v18
	v_rcp_f32_e32 v3, v1
	v_div_scale_f32 v4, vcc, v18, v2, v18
	.loc	1 169 72                        ; attention_aot.py:169:72
	s_mul_hi_i32 s3, s17, s37
	.loc	1 291 16                        ; attention_aot.py:291:16
	v_fma_f32 v5, -v1, v3, 1.0
	v_fmac_f32_e32 v3, v5, v3
	v_mul_f32_e32 v5, v4, v3
	v_fma_f32 v6, -v1, v5, v4
	v_fmac_f32_e32 v5, v6, v3
	v_fma_f32 v1, -v1, v5, v4
	v_div_scale_f32 v4, s[0:1], v2, v2, v19
	v_rcp_f32_e32 v6, v4
	v_div_fmas_f32 v1, v1, v3, v5
	v_div_fixup_f32 v34, v1, v2, v18
	.loc	1 169 72                        ; attention_aot.py:169:72
	s_mul_i32 s2, s17, s37
	.loc	1 291 16                        ; attention_aot.py:291:16
	v_fma_f32 v1, -v4, v6, 1.0
	v_fmac_f32_e32 v6, v1, v6
	v_div_scale_f32 v1, vcc, v19, v2, v19
	v_mul_f32_e32 v3, v1, v6
	v_fma_f32 v5, -v4, v3, v1
	v_fmac_f32_e32 v3, v5, v6
	v_fma_f32 v1, -v4, v3, v1
	v_div_scale_f32 v4, s[0:1], v2, v2, v20
	v_rcp_f32_e32 v5, v4
	v_div_fmas_f32 v1, v1, v6, v3
	v_div_fixup_f32 v35, v1, v2, v19
	.loc	1 218 28                        ; attention_aot.py:218:28
	v_mul_lo_u32 v0, s38, v0
	.loc	1 291 16                        ; attention_aot.py:291:16
	v_fma_f32 v1, -v4, v5, 1.0
	v_fmac_f32_e32 v5, v1, v5
	v_div_scale_f32 v1, vcc, v20, v2, v20
	v_mul_f32_e32 v3, v1, v5
	v_fma_f32 v6, -v4, v3, v1
	v_fmac_f32_e32 v3, v6, v5
	v_fma_f32 v1, -v4, v3, v1
	v_div_scale_f32 v4, s[0:1], v2, v2, v21
	v_rcp_f32_e32 v6, v4
	v_div_fmas_f32 v1, v1, v5, v3
	v_div_fixup_f32 v36, v1, v2, v20
	.loc	1 294 33                        ; attention_aot.py:294:33
	v_cvt_f16_f32_e32 v34, v34
	.loc	1 291 16                        ; attention_aot.py:291:16
	v_fma_f32 v1, -v4, v6, 1.0
	v_fmac_f32_e32 v6, v1, v6
	v_div_scale_f32 v1, vcc, v21, v2, v21
	v_mul_f32_e32 v3, v1, v6
	v_fma_f32 v5, -v4, v3, v1
	v_fmac_f32_e32 v3, v5, v6
	v_fma_f32 v1, -v4, v3, v1
	v_div_scale_f32 v4, s[0:1], v2, v2, v22
	v_rcp_f32_e32 v5, v4
	v_div_fmas_f32 v1, v1, v6, v3
	v_div_fixup_f32 v37, v1, v2, v21
	.loc	1 294 33                        ; attention_aot.py:294:33
	v_cvt_f16_f32_e32 v35, v35
	;; [unrolled: 14-line block ×12, first 2 shown]
	.loc	1 291 16                        ; attention_aot.py:291:16
	v_fma_f32 v1, -v4, v5, 1.0
	v_fmac_f32_e32 v5, v1, v5
	v_div_scale_f32 v1, vcc, v32, v2, v32
	v_mul_f32_e32 v3, v1, v5
	v_fma_f32 v6, -v4, v3, v1
	v_fmac_f32_e32 v3, v6, v5
	v_fma_f32 v1, -v4, v3, v1
	v_div_scale_f32 v4, s[0:1], v2, v2, v33
	v_rcp_f32_e32 v6, v4
	v_div_fmas_f32 v1, v1, v5, v3
	v_div_fixup_f32 v32, v1, v2, v32
	.loc	1 169 32                        ; attention_aot.py:169:32
	s_mul_hi_i32 s1, s33, s36
	.loc	1 291 16                        ; attention_aot.py:291:16
	v_fma_f32 v1, -v4, v6, 1.0
	v_fmac_f32_e32 v6, v1, v6
	v_div_scale_f32 v1, vcc, v33, v2, v33
	v_mul_f32_e32 v3, v1, v6
	v_fma_f32 v5, -v4, v3, v1
	v_fmac_f32_e32 v3, v5, v6
	.loc	1 169 32                        ; attention_aot.py:169:32
	s_mul_i32 s0, s33, s36
	.loc	1 291 16                        ; attention_aot.py:291:16
	v_fma_f32 v1, -v4, v3, v1
	.loc	1 217 10                        ; attention_aot.py:217:10
	s_lshl_b64 s[0:1], s[0:1], 1
	.loc	1 291 16                        ; attention_aot.py:291:16
	v_div_fmas_f32 v1, v1, v6, v3
	.loc	1 217 10                        ; attention_aot.py:217:10
	s_add_u32 s4, s42, s0
	.loc	1 291 16                        ; attention_aot.py:291:16
	v_div_fixup_f32 v33, v1, v2, v33
	.loc	1 186 24                        ; attention_aot.py:186:24
	v_lshrrev_b32_e32 v1, 1, v118
	.loc	1 217 10                        ; attention_aot.py:217:10
	s_addc_u32 s5, s43, s1
	s_lshl_b64 s[0:1], s[2:3], 1
	.loc	1 186 24                        ; attention_aot.py:186:24
	v_or_b32_e32 v2, v101, v1
	.loc	1 217 10                        ; attention_aot.py:217:10
	s_add_u32 s0, s4, s0
	.loc	1 218 10                        ; attention_aot.py:218:10
	v_ashrrev_i32_e32 v1, 31, v0
	.loc	1 217 10                        ; attention_aot.py:217:10
	s_addc_u32 s1, s5, s1
	.loc	1 218 10                        ; attention_aot.py:218:10
	v_lshlrev_b64 v[0:1], 1, v[0:1]
	v_mov_b32_e32 v6, s1
	v_add_co_u32_e32 v48, vcc, s0, v0
	.loc	1 219 35                        ; attention_aot.py:219:35
	v_mul_lo_u32 v0, s39, v2
	.loc	1 186 24                        ; attention_aot.py:186:24
	v_or_b32_e32 v3, 1, v2
	.loc	1 218 10                        ; attention_aot.py:218:10
	v_addc_co_u32_e32 v49, vcc, v6, v1, vcc
	.loc	1 219 10                        ; attention_aot.py:219:10
	v_ashrrev_i32_e32 v1, 31, v0
	.loc	1 186 24                        ; attention_aot.py:186:24
	v_or_b32_e32 v4, 2, v2
	v_or_b32_e32 v5, 3, v2
	;; [unrolled: 1-line block ×14, first 2 shown]
	.loc	1 219 35                        ; attention_aot.py:219:35
	v_mul_lo_u32 v2, s39, v3
	.loc	1 219 10 is_stmt 0              ; attention_aot.py:219:10
	v_lshlrev_b64 v[0:1], 1, v[0:1]
	v_add_co_u32_e32 v0, vcc, v48, v0
	v_ashrrev_i32_e32 v3, 31, v2
	.loc	1 219 35                        ; attention_aot.py:219:35
	v_mul_lo_u32 v4, s39, v4
	.loc	1 219 10                        ; attention_aot.py:219:10
	v_addc_co_u32_e32 v1, vcc, v49, v1, vcc
	v_lshlrev_b64 v[2:3], 1, v[2:3]
	.loc	1 219 35                        ; attention_aot.py:219:35
	v_mul_lo_u32 v6, s39, v5
	.loc	1 219 10                        ; attention_aot.py:219:10
	v_add_co_u32_e32 v2, vcc, v48, v2
	v_ashrrev_i32_e32 v5, 31, v4
	v_addc_co_u32_e32 v3, vcc, v49, v3, vcc
	v_lshlrev_b64 v[4:5], 1, v[4:5]
	.loc	1 219 35                        ; attention_aot.py:219:35
	v_mul_lo_u32 v8, s39, v7
	.loc	1 219 10                        ; attention_aot.py:219:10
	v_add_co_u32_e32 v4, vcc, v48, v4
	v_ashrrev_i32_e32 v7, 31, v6
	;; [unrolled: 7-line block ×13, first 2 shown]
	v_addc_co_u32_e32 v27, vcc, v49, v27, vcc
	v_lshlrev_b64 v[28:29], 1, v[28:29]
	v_add_co_u32_e32 v28, vcc, v48, v28
	v_ashrrev_i32_e32 v31, 31, v30
	v_addc_co_u32_e32 v29, vcc, v49, v29, vcc
	v_lshlrev_b64 v[30:31], 1, v[30:31]
	v_add_co_u32_e32 v30, vcc, v48, v30
	v_addc_co_u32_e32 v31, vcc, v49, v31, vcc
	.loc	1 294 33 is_stmt 1              ; attention_aot.py:294:33
	v_cvt_f16_f32_e32 v33, v33
	v_cvt_f16_f32_e32 v32, v32
	;; [unrolled: 1-line block ×4, first 2 shown]
	.loc	1 294 26 is_stmt 0              ; attention_aot.py:294:26
	global_store_short v[0:1], v34, off
	global_store_short v[2:3], v35, off
	;; [unrolled: 1-line block ×16, first 2 shown]
.LBB0_142:                              ; %.critedge28
	.loc	1 294 4                         ; attention_aot.py:294:4
	s_endpgm
.Ltmp244:
	.section	.rodata,"a",@progbits
	.p2align	6, 0x0
	.amdhsa_kernel _attn_fwd
		.amdhsa_group_segment_fixed_size 0
		.amdhsa_private_segment_fixed_size 0
		.amdhsa_kernarg_size 176
		.amdhsa_user_sgpr_count 15
		.amdhsa_user_sgpr_private_segment_buffer 1
		.amdhsa_user_sgpr_dispatch_ptr 0
		.amdhsa_user_sgpr_queue_ptr 0
		.amdhsa_user_sgpr_kernarg_segment_ptr 1
		.amdhsa_user_sgpr_dispatch_id 0
		.amdhsa_user_sgpr_flat_scratch_init 0
		.amdhsa_user_sgpr_kernarg_preload_length 9
		.amdhsa_user_sgpr_kernarg_preload_offset 0
		.amdhsa_user_sgpr_private_segment_size 0
		.amdhsa_uses_dynamic_stack 0
		.amdhsa_system_sgpr_private_segment_wavefront_offset 0
		.amdhsa_system_sgpr_workgroup_id_x 1
		.amdhsa_system_sgpr_workgroup_id_y 1
		.amdhsa_system_sgpr_workgroup_id_z 0
		.amdhsa_system_sgpr_workgroup_info 0
		.amdhsa_system_vgpr_workitem_id 0
		.amdhsa_next_free_vgpr 233
		.amdhsa_next_free_sgpr 62
		.amdhsa_accum_offset 236
		.amdhsa_reserve_vcc 1
		.amdhsa_reserve_flat_scratch 0
		.amdhsa_reserve_xnack_mask 1
		.amdhsa_float_round_mode_32 0
		.amdhsa_float_round_mode_16_64 0
		.amdhsa_float_denorm_mode_32 3
		.amdhsa_float_denorm_mode_16_64 3
		.amdhsa_dx10_clamp 1
		.amdhsa_ieee_mode 1
		.amdhsa_fp16_overflow 0
		.amdhsa_tg_split 0
		.amdhsa_exception_fp_ieee_invalid_op 0
		.amdhsa_exception_fp_denorm_src 0
		.amdhsa_exception_fp_ieee_div_zero 0
		.amdhsa_exception_fp_ieee_overflow 0
		.amdhsa_exception_fp_ieee_underflow 0
		.amdhsa_exception_fp_ieee_inexact 0
		.amdhsa_exception_int_div_zero 0
	.end_amdhsa_kernel
	.text
.Lfunc_end0:
	.size	_attn_fwd, .Lfunc_end0-_attn_fwd
	.cfi_endproc
                                        ; -- End function
	.set _attn_fwd.num_vgpr, 233
	.set _attn_fwd.num_agpr, 0
	.set _attn_fwd.numbered_sgpr, 62
	.set _attn_fwd.num_named_barrier, 0
	.set _attn_fwd.private_seg_size, 0
	.set _attn_fwd.uses_vcc, 1
	.set _attn_fwd.uses_flat_scratch, 0
	.set _attn_fwd.has_dyn_sized_stack, 0
	.set _attn_fwd.has_recursion, 0
	.set _attn_fwd.has_indirect_call, 0
	.section	.AMDGPU.csdata,"",@progbits
; Kernel info:
; codeLenInByte = 20672
; TotalNumSgprs: 66
; NumVgprs: 233
; NumAgprs: 0
; TotalNumVgprs: 233
; ScratchSize: 0
; MemoryBound: 0
; FloatMode: 240
; IeeeMode: 1
; LDSByteSize: 0 bytes/workgroup (compile time only)
; SGPRBlocks: 8
; VGPRBlocks: 29
; NumSGPRsForWavesPerEU: 66
; NumVGPRsForWavesPerEU: 233
; AccumOffset: 236
; Occupancy: 2
; WaveLimiterHint : 0
; COMPUTE_PGM_RSRC2:SCRATCH_EN: 0
; COMPUTE_PGM_RSRC2:USER_SGPR: 15
; COMPUTE_PGM_RSRC2:TRAP_HANDLER: 0
; COMPUTE_PGM_RSRC2:TGID_X_EN: 1
; COMPUTE_PGM_RSRC2:TGID_Y_EN: 1
; COMPUTE_PGM_RSRC2:TGID_Z_EN: 0
; COMPUTE_PGM_RSRC2:TIDIG_COMP_CNT: 0
; COMPUTE_PGM_RSRC3_GFX90A:ACCUM_OFFSET: 58
; COMPUTE_PGM_RSRC3_GFX90A:TG_SPLIT: 0
	.text
	.p2alignl 6, 3212836864
	.fill 256, 4, 3212836864
	.section	.AMDGPU.gpr_maximums,"",@progbits
	.set amdgpu.max_num_vgpr, 0
	.set amdgpu.max_num_agpr, 0
	.set amdgpu.max_num_sgpr, 0
	.set amdgpu.max_num_named_barrier, 0
	.text
	.section	.debug_abbrev,"",@progbits
	.byte	1                               ; Abbreviation Code
	.byte	17                              ; DW_TAG_compile_unit
	.byte	1                               ; DW_CHILDREN_yes
	.byte	37                              ; DW_AT_producer
	.byte	14                              ; DW_FORM_strp
	.byte	19                              ; DW_AT_language
	.byte	5                               ; DW_FORM_data2
	.byte	3                               ; DW_AT_name
	.byte	14                              ; DW_FORM_strp
	.byte	16                              ; DW_AT_stmt_list
	.byte	23                              ; DW_FORM_sec_offset
	.byte	27                              ; DW_AT_comp_dir
	.byte	14                              ; DW_FORM_strp
	.byte	17                              ; DW_AT_low_pc
	.byte	1                               ; DW_FORM_addr
	.byte	18                              ; DW_AT_high_pc
	.byte	6                               ; DW_FORM_data4
	.byte	0                               ; EOM(1)
	.byte	0                               ; EOM(2)
	.byte	2                               ; Abbreviation Code
	.byte	46                              ; DW_TAG_subprogram
	.byte	0                               ; DW_CHILDREN_no
	.byte	3                               ; DW_AT_name
	.byte	14                              ; DW_FORM_strp
	.byte	32                              ; DW_AT_inline
	.byte	11                              ; DW_FORM_data1
	.byte	0                               ; EOM(1)
	.byte	0                               ; EOM(2)
	.byte	3                               ; Abbreviation Code
	.byte	46                              ; DW_TAG_subprogram
	.byte	1                               ; DW_CHILDREN_yes
	.byte	17                              ; DW_AT_low_pc
	.byte	1                               ; DW_FORM_addr
	.byte	18                              ; DW_AT_high_pc
	.byte	6                               ; DW_FORM_data4
	.byte	49                              ; DW_AT_abstract_origin
	.byte	19                              ; DW_FORM_ref4
	.byte	0                               ; EOM(1)
	.byte	0                               ; EOM(2)
	.byte	4                               ; Abbreviation Code
	.byte	29                              ; DW_TAG_inlined_subroutine
	.byte	1                               ; DW_CHILDREN_yes
	.byte	49                              ; DW_AT_abstract_origin
	.byte	19                              ; DW_FORM_ref4
	.byte	85                              ; DW_AT_ranges
	.byte	23                              ; DW_FORM_sec_offset
	.byte	88                              ; DW_AT_call_file
	.byte	11                              ; DW_FORM_data1
	.byte	89                              ; DW_AT_call_line
	.byte	5                               ; DW_FORM_data2
	.byte	87                              ; DW_AT_call_column
	.byte	11                              ; DW_FORM_data1
	.byte	0                               ; EOM(1)
	.byte	0                               ; EOM(2)
	.byte	5                               ; Abbreviation Code
	.byte	29                              ; DW_TAG_inlined_subroutine
	.byte	1                               ; DW_CHILDREN_yes
	.byte	49                              ; DW_AT_abstract_origin
	.byte	19                              ; DW_FORM_ref4
	.byte	85                              ; DW_AT_ranges
	.byte	23                              ; DW_FORM_sec_offset
	.byte	88                              ; DW_AT_call_file
	.byte	11                              ; DW_FORM_data1
	.byte	89                              ; DW_AT_call_line
	.byte	11                              ; DW_FORM_data1
	.byte	87                              ; DW_AT_call_column
	.byte	11                              ; DW_FORM_data1
	.byte	0                               ; EOM(1)
	.byte	0                               ; EOM(2)
	.byte	6                               ; Abbreviation Code
	.byte	29                              ; DW_TAG_inlined_subroutine
	.byte	0                               ; DW_CHILDREN_no
	.byte	49                              ; DW_AT_abstract_origin
	.byte	19                              ; DW_FORM_ref4
	.byte	85                              ; DW_AT_ranges
	.byte	23                              ; DW_FORM_sec_offset
	.byte	88                              ; DW_AT_call_file
	.byte	11                              ; DW_FORM_data1
	.byte	89                              ; DW_AT_call_line
	.byte	11                              ; DW_FORM_data1
	.byte	87                              ; DW_AT_call_column
	.byte	11                              ; DW_FORM_data1
	.byte	0                               ; EOM(1)
	.byte	0                               ; EOM(2)
	.byte	7                               ; Abbreviation Code
	.byte	29                              ; DW_TAG_inlined_subroutine
	.byte	0                               ; DW_CHILDREN_no
	.byte	49                              ; DW_AT_abstract_origin
	.byte	19                              ; DW_FORM_ref4
	.byte	85                              ; DW_AT_ranges
	.byte	23                              ; DW_FORM_sec_offset
	.byte	88                              ; DW_AT_call_file
	.byte	11                              ; DW_FORM_data1
	.byte	89                              ; DW_AT_call_line
	.byte	5                               ; DW_FORM_data2
	.byte	87                              ; DW_AT_call_column
	.byte	11                              ; DW_FORM_data1
	.byte	0                               ; EOM(1)
	.byte	0                               ; EOM(2)
	;; [unrolled: 1-line block ×3, first 2 shown]
	.section	.debug_info,"",@progbits
.Lcu_begin0:
	.long	.Ldebug_info_end0-.Ldebug_info_start0 ; Length of Unit
.Ldebug_info_start0:
	.short	4                               ; DWARF version number
	.long	.debug_abbrev                   ; Offset Into Abbrev. Section
	.byte	8                               ; Address Size (in bytes)
	.byte	1                               ; Abbrev [1] 0xb:0xba DW_TAG_compile_unit
	.long	.Linfo_string0                  ; DW_AT_producer
	.short	2                               ; DW_AT_language
	.long	.Linfo_string1                  ; DW_AT_name
	.long	.Lline_table_start0             ; DW_AT_stmt_list
	.long	.Linfo_string2                  ; DW_AT_comp_dir
	.quad	.Lfunc_begin0                   ; DW_AT_low_pc
	.long	.Lfunc_end0-.Lfunc_begin0       ; DW_AT_high_pc
	.byte	2                               ; Abbrev [2] 0x2a:0x6 DW_TAG_subprogram
	.long	.Linfo_string3                  ; DW_AT_name
	.byte	1                               ; DW_AT_inline
	.byte	3                               ; Abbrev [3] 0x30:0x94 DW_TAG_subprogram
	.quad	.Lfunc_begin0                   ; DW_AT_low_pc
	.long	.Lfunc_end0-.Lfunc_begin0       ; DW_AT_high_pc
	.long	42                              ; DW_AT_abstract_origin
	.byte	4                               ; Abbrev [4] 0x41:0x41 DW_TAG_inlined_subroutine
	.long	42                              ; DW_AT_abstract_origin
	.long	.Ldebug_ranges0                 ; DW_AT_ranges
	.byte	1                               ; DW_AT_call_file
	.short	258                             ; DW_AT_call_line
	.byte	12                              ; DW_AT_call_column
	.byte	5                               ; Abbrev [5] 0x4e:0x19 DW_TAG_inlined_subroutine
	.long	42                              ; DW_AT_abstract_origin
	.long	.Ldebug_ranges1                 ; DW_AT_ranges
	.byte	1                               ; DW_AT_call_file
	.byte	86                              ; DW_AT_call_line
	.byte	46                              ; DW_AT_call_column
	.byte	6                               ; Abbrev [6] 0x5a:0xc DW_TAG_inlined_subroutine
	.long	42                              ; DW_AT_abstract_origin
	.long	.Ldebug_ranges2                 ; DW_AT_ranges
	.byte	2                               ; DW_AT_call_file
	.byte	191                             ; DW_AT_call_line
	.byte	40                              ; DW_AT_call_column
	.byte	0                               ; End Of Children Mark
	.byte	5                               ; Abbrev [5] 0x67:0x1a DW_TAG_inlined_subroutine
	.long	42                              ; DW_AT_abstract_origin
	.long	.Ldebug_ranges3                 ; DW_AT_ranges
	.byte	1                               ; DW_AT_call_file
	.byte	90                              ; DW_AT_call_line
	.byte	25                              ; DW_AT_call_column
	.byte	7                               ; Abbrev [7] 0x73:0xd DW_TAG_inlined_subroutine
	.long	42                              ; DW_AT_abstract_origin
	.long	.Ldebug_ranges4                 ; DW_AT_ranges
	.byte	2                               ; DW_AT_call_file
	.short	293                             ; DW_AT_call_line
	.byte	36                              ; DW_AT_call_column
	.byte	0                               ; End Of Children Mark
	.byte	0                               ; End Of Children Mark
	.byte	4                               ; Abbrev [4] 0x82:0x41 DW_TAG_inlined_subroutine
	.long	42                              ; DW_AT_abstract_origin
	.long	.Ldebug_ranges5                 ; DW_AT_ranges
	.byte	1                               ; DW_AT_call_file
	.short	287                             ; DW_AT_call_line
	.byte	12                              ; DW_AT_call_column
	.byte	5                               ; Abbrev [5] 0x8f:0x19 DW_TAG_inlined_subroutine
	.long	42                              ; DW_AT_abstract_origin
	.long	.Ldebug_ranges6                 ; DW_AT_ranges
	.byte	1                               ; DW_AT_call_file
	.byte	80                              ; DW_AT_call_line
	.byte	46                              ; DW_AT_call_column
	.byte	6                               ; Abbrev [6] 0x9b:0xc DW_TAG_inlined_subroutine
	.long	42                              ; DW_AT_abstract_origin
	.long	.Ldebug_ranges7                 ; DW_AT_ranges
	.byte	2                               ; DW_AT_call_file
	.byte	191                             ; DW_AT_call_line
	.byte	40                              ; DW_AT_call_column
	.byte	0                               ; End Of Children Mark
	.byte	5                               ; Abbrev [5] 0xa8:0x1a DW_TAG_inlined_subroutine
	.long	42                              ; DW_AT_abstract_origin
	.long	.Ldebug_ranges8                 ; DW_AT_ranges
	.byte	1                               ; DW_AT_call_file
	.byte	90                              ; DW_AT_call_line
	.byte	25                              ; DW_AT_call_column
	.byte	7                               ; Abbrev [7] 0xb4:0xd DW_TAG_inlined_subroutine
	.long	42                              ; DW_AT_abstract_origin
	.long	.Ldebug_ranges9                 ; DW_AT_ranges
	.byte	2                               ; DW_AT_call_file
	.short	293                             ; DW_AT_call_line
	.byte	36                              ; DW_AT_call_column
	.byte	0                               ; End Of Children Mark
	.byte	0                               ; End Of Children Mark
	;; [unrolled: 1-line block ×4, first 2 shown]
.Ldebug_info_end0:
	.section	.debug_ranges,"",@progbits
.Ldebug_ranges0:
	.quad	.Ltmp2-.Lfunc_begin0
	.quad	.Ltmp3-.Lfunc_begin0
	;; [unrolled: 1-line block ×4, first 2 shown]
	.quad	0
	.quad	0
.Ldebug_ranges1:
	.quad	.Ltmp5-.Lfunc_begin0
	.quad	.Ltmp6-.Lfunc_begin0
	.quad	.Ltmp7-.Lfunc_begin0
	.quad	.Ltmp8-.Lfunc_begin0
	.quad	.Ltmp9-.Lfunc_begin0
	.quad	.Ltmp10-.Lfunc_begin0
	.quad	.Ltmp11-.Lfunc_begin0
	.quad	.Ltmp12-.Lfunc_begin0
	.quad	.Ltmp13-.Lfunc_begin0
	.quad	.Ltmp14-.Lfunc_begin0
	.quad	.Ltmp15-.Lfunc_begin0
	.quad	.Ltmp16-.Lfunc_begin0
	.quad	.Ltmp17-.Lfunc_begin0
	.quad	.Ltmp18-.Lfunc_begin0
	.quad	.Ltmp19-.Lfunc_begin0
	.quad	.Ltmp20-.Lfunc_begin0
	.quad	.Ltmp21-.Lfunc_begin0
	.quad	.Ltmp22-.Lfunc_begin0
	.quad	.Ltmp23-.Lfunc_begin0
	.quad	.Ltmp24-.Lfunc_begin0
	.quad	.Ltmp25-.Lfunc_begin0
	.quad	.Ltmp27-.Lfunc_begin0
	.quad	0
	.quad	0
.Ldebug_ranges2:
	.quad	.Ltmp5-.Lfunc_begin0
	.quad	.Ltmp6-.Lfunc_begin0
	;; [unrolled: 1-line block ×22, first 2 shown]
	.quad	0
	.quad	0
.Ldebug_ranges3:
	.quad	.Ltmp28-.Lfunc_begin0
	.quad	.Ltmp29-.Lfunc_begin0
	;; [unrolled: 1-line block ×20, first 2 shown]
	.quad	0
	.quad	0
.Ldebug_ranges4:
	.quad	.Ltmp28-.Lfunc_begin0
	.quad	.Ltmp29-.Lfunc_begin0
	;; [unrolled: 1-line block ×20, first 2 shown]
	.quad	0
	.quad	0
.Ldebug_ranges5:
	.quad	.Ltmp50-.Lfunc_begin0
	.quad	.Ltmp51-.Lfunc_begin0
	;; [unrolled: 1-line block ×88, first 2 shown]
	.quad	0
	.quad	0
.Ldebug_ranges6:
	.quad	.Ltmp135-.Lfunc_begin0
	.quad	.Ltmp136-.Lfunc_begin0
	;; [unrolled: 1-line block ×60, first 2 shown]
	.quad	0
	.quad	0
.Ldebug_ranges7:
	.quad	.Ltmp135-.Lfunc_begin0
	.quad	.Ltmp136-.Lfunc_begin0
	;; [unrolled: 1-line block ×60, first 2 shown]
	.quad	0
	.quad	0
.Ldebug_ranges8:
	.quad	.Ltmp166-.Lfunc_begin0
	.quad	.Ltmp167-.Lfunc_begin0
	;; [unrolled: 1-line block ×42, first 2 shown]
	.quad	0
	.quad	0
.Ldebug_ranges9:
	.quad	.Ltmp166-.Lfunc_begin0
	.quad	.Ltmp167-.Lfunc_begin0
	;; [unrolled: 1-line block ×42, first 2 shown]
	.quad	0
	.quad	0
	.section	.debug_str,"MS",@progbits,1
.Linfo_string0:
	.asciz	"triton"                        ; string offset=0
.Linfo_string1:
	.asciz	"attention_aot.py"              ; string offset=7
.Linfo_string2:
	.asciz	"/root/src/amdgpu-assembly/repos/FlagOpen__FlagGems/triton_aot_kernels" ; string offset=24
.Linfo_string3:
	.asciz	"_attn_fwd"                     ; string offset=94
	.section	".note.GNU-stack","",@progbits
	.amdgpu_metadata
---
amdhsa.kernels:
  - .agpr_count:     0
    .args:
      - .address_space:  global
        .offset:         0
        .size:           8
        .value_kind:     global_buffer
      - .address_space:  global
        .offset:         8
        .size:           8
        .value_kind:     global_buffer
      - .address_space:  global
        .offset:         16
        .size:           8
        .value_kind:     global_buffer
      - .address_space:  global
        .offset:         24
        .size:           8
        .value_kind:     global_buffer
      - .offset:         32
        .size:           4
        .value_kind:     by_value
      - .address_space:  global
        .offset:         40
        .size:           8
        .value_kind:     global_buffer
      - .address_space:  global
        .offset:         48
        .size:           8
        .value_kind:     global_buffer
      - .offset:         56
        .size:           4
        .value_kind:     by_value
      - .offset:         60
        .size:           4
        .value_kind:     by_value
      - .offset:         64
        .size:           4
        .value_kind:     by_value
      - .offset:         68
        .size:           4
        .value_kind:     by_value
      - .offset:         72
        .size:           4
        .value_kind:     by_value
      - .offset:         76
        .size:           4
        .value_kind:     by_value
      - .offset:         80
        .size:           4
        .value_kind:     by_value
      - .offset:         84
        .size:           4
        .value_kind:     by_value
      - .offset:         88
        .size:           4
        .value_kind:     by_value
      - .offset:         92
        .size:           4
        .value_kind:     by_value
      - .offset:         96
        .size:           4
        .value_kind:     by_value
      - .offset:         100
        .size:           4
        .value_kind:     by_value
      - .offset:         104
        .size:           4
        .value_kind:     by_value
      - .offset:         108
        .size:           4
        .value_kind:     by_value
      - .offset:         112
        .size:           4
        .value_kind:     by_value
      - .offset:         116
        .size:           4
        .value_kind:     by_value
      - .offset:         120
        .size:           4
        .value_kind:     by_value
      - .offset:         124
        .size:           4
        .value_kind:     by_value
      - .offset:         128
        .size:           4
        .value_kind:     by_value
      - .offset:         132
        .size:           4
        .value_kind:     by_value
      - .offset:         136
        .size:           4
        .value_kind:     by_value
      - .offset:         140
        .size:           4
        .value_kind:     by_value
      - .offset:         144
        .size:           4
        .value_kind:     by_value
      - .offset:         148
        .size:           4
        .value_kind:     by_value
      - .offset:         152
        .size:           4
        .value_kind:     by_value
      - .address_space:  global
        .offset:         160
        .size:           8
        .value_kind:     global_buffer
      - .address_space:  global
        .offset:         168
        .size:           8
        .value_kind:     global_buffer
    .group_segment_fixed_size: 0
    .kernarg_segment_align: 8
    .kernarg_segment_size: 176
    .max_flat_workgroup_size: 512
    .name:           _attn_fwd
    .private_segment_fixed_size: 0
    .sgpr_count:     66
    .sgpr_spill_count: 0
    .symbol:         _attn_fwd.kd
    .uniform_work_group_size: 1
    .uses_dynamic_stack: false
    .vgpr_count:     233
    .vgpr_spill_count: 0
    .wavefront_size: 64
amdhsa.target:   amdgcn-amd-amdhsa--gfx90a
amdhsa.version:
  - 1
  - 2
...

	.end_amdgpu_metadata
	.section	.debug_line,"",@progbits
.Lline_table_start0:
